;; amdgpu-corpus repo=ROCm/rocFFT kind=compiled arch=gfx1201 opt=O3
	.text
	.amdgcn_target "amdgcn-amd-amdhsa--gfx1201"
	.amdhsa_code_object_version 6
	.protected	fft_rtc_fwd_len1176_factors_2_2_2_3_7_7_wgs_56_tpt_56_halfLds_dp_op_CI_CI_unitstride_sbrr_dirReg ; -- Begin function fft_rtc_fwd_len1176_factors_2_2_2_3_7_7_wgs_56_tpt_56_halfLds_dp_op_CI_CI_unitstride_sbrr_dirReg
	.globl	fft_rtc_fwd_len1176_factors_2_2_2_3_7_7_wgs_56_tpt_56_halfLds_dp_op_CI_CI_unitstride_sbrr_dirReg
	.p2align	8
	.type	fft_rtc_fwd_len1176_factors_2_2_2_3_7_7_wgs_56_tpt_56_halfLds_dp_op_CI_CI_unitstride_sbrr_dirReg,@function
fft_rtc_fwd_len1176_factors_2_2_2_3_7_7_wgs_56_tpt_56_halfLds_dp_op_CI_CI_unitstride_sbrr_dirReg: ; @fft_rtc_fwd_len1176_factors_2_2_2_3_7_7_wgs_56_tpt_56_halfLds_dp_op_CI_CI_unitstride_sbrr_dirReg
; %bb.0:
	s_clause 0x2
	s_load_b128 s[8:11], s[0:1], 0x0
	s_load_b128 s[4:7], s[0:1], 0x58
	;; [unrolled: 1-line block ×3, first 2 shown]
	v_mul_u32_u24_e32 v1, 0x493, v0
	v_mov_b32_e32 v4, 0
	v_mov_b32_e32 v5, 0
	s_delay_alu instid0(VALU_DEP_3) | instskip(NEXT) | instid1(VALU_DEP_1)
	v_lshrrev_b32_e32 v2, 16, v1
	v_dual_mov_b32 v1, 0 :: v_dual_add_nc_u32 v6, ttmp9, v2
	s_delay_alu instid0(VALU_DEP_1) | instskip(SKIP_2) | instid1(VALU_DEP_1)
	v_mov_b32_e32 v7, v1
	s_wait_kmcnt 0x0
	v_cmp_lt_u64_e64 s2, s[10:11], 2
	s_and_b32 vcc_lo, exec_lo, s2
	s_cbranch_vccnz .LBB0_8
; %bb.1:
	s_load_b64 s[2:3], s[0:1], 0x10
	v_mov_b32_e32 v4, 0
	v_mov_b32_e32 v5, 0
	s_add_nc_u64 s[16:17], s[14:15], 8
	s_add_nc_u64 s[18:19], s[12:13], 8
	s_mov_b64 s[20:21], 1
	s_delay_alu instid0(VALU_DEP_1)
	v_dual_mov_b32 v129, v5 :: v_dual_mov_b32 v128, v4
	s_wait_kmcnt 0x0
	s_add_nc_u64 s[22:23], s[2:3], 8
	s_mov_b32 s3, 0
.LBB0_2:                                ; =>This Inner Loop Header: Depth=1
	s_load_b64 s[24:25], s[22:23], 0x0
                                        ; implicit-def: $vgpr130_vgpr131
	s_mov_b32 s2, exec_lo
	s_wait_kmcnt 0x0
	v_or_b32_e32 v2, s25, v7
	s_delay_alu instid0(VALU_DEP_1)
	v_cmpx_ne_u64_e32 0, v[1:2]
	s_wait_alu 0xfffe
	s_xor_b32 s26, exec_lo, s2
	s_cbranch_execz .LBB0_4
; %bb.3:                                ;   in Loop: Header=BB0_2 Depth=1
	s_cvt_f32_u32 s2, s24
	s_cvt_f32_u32 s27, s25
	s_sub_nc_u64 s[30:31], 0, s[24:25]
	s_wait_alu 0xfffe
	s_delay_alu instid0(SALU_CYCLE_1) | instskip(SKIP_1) | instid1(SALU_CYCLE_2)
	s_fmamk_f32 s2, s27, 0x4f800000, s2
	s_wait_alu 0xfffe
	v_s_rcp_f32 s2, s2
	s_delay_alu instid0(TRANS32_DEP_1) | instskip(SKIP_1) | instid1(SALU_CYCLE_2)
	s_mul_f32 s2, s2, 0x5f7ffffc
	s_wait_alu 0xfffe
	s_mul_f32 s27, s2, 0x2f800000
	s_wait_alu 0xfffe
	s_delay_alu instid0(SALU_CYCLE_2) | instskip(SKIP_1) | instid1(SALU_CYCLE_2)
	s_trunc_f32 s27, s27
	s_wait_alu 0xfffe
	s_fmamk_f32 s2, s27, 0xcf800000, s2
	s_cvt_u32_f32 s29, s27
	s_wait_alu 0xfffe
	s_delay_alu instid0(SALU_CYCLE_1) | instskip(SKIP_1) | instid1(SALU_CYCLE_2)
	s_cvt_u32_f32 s28, s2
	s_wait_alu 0xfffe
	s_mul_u64 s[34:35], s[30:31], s[28:29]
	s_wait_alu 0xfffe
	s_mul_hi_u32 s37, s28, s35
	s_mul_i32 s36, s28, s35
	s_mul_hi_u32 s2, s28, s34
	s_mul_i32 s33, s29, s34
	s_wait_alu 0xfffe
	s_add_nc_u64 s[36:37], s[2:3], s[36:37]
	s_mul_hi_u32 s27, s29, s34
	s_mul_hi_u32 s38, s29, s35
	s_add_co_u32 s2, s36, s33
	s_wait_alu 0xfffe
	s_add_co_ci_u32 s2, s37, s27
	s_mul_i32 s34, s29, s35
	s_add_co_ci_u32 s35, s38, 0
	s_wait_alu 0xfffe
	s_add_nc_u64 s[34:35], s[2:3], s[34:35]
	s_wait_alu 0xfffe
	v_add_co_u32 v2, s2, s28, s34
	s_delay_alu instid0(VALU_DEP_1) | instskip(SKIP_1) | instid1(VALU_DEP_1)
	s_cmp_lg_u32 s2, 0
	s_add_co_ci_u32 s29, s29, s35
	v_readfirstlane_b32 s28, v2
	s_wait_alu 0xfffe
	s_delay_alu instid0(VALU_DEP_1)
	s_mul_u64 s[30:31], s[30:31], s[28:29]
	s_wait_alu 0xfffe
	s_mul_hi_u32 s35, s28, s31
	s_mul_i32 s34, s28, s31
	s_mul_hi_u32 s2, s28, s30
	s_mul_i32 s33, s29, s30
	s_wait_alu 0xfffe
	s_add_nc_u64 s[34:35], s[2:3], s[34:35]
	s_mul_hi_u32 s27, s29, s30
	s_mul_hi_u32 s28, s29, s31
	s_wait_alu 0xfffe
	s_add_co_u32 s2, s34, s33
	s_add_co_ci_u32 s2, s35, s27
	s_mul_i32 s30, s29, s31
	s_add_co_ci_u32 s31, s28, 0
	s_wait_alu 0xfffe
	s_add_nc_u64 s[30:31], s[2:3], s[30:31]
	s_wait_alu 0xfffe
	v_add_co_u32 v8, s2, v2, s30
	s_delay_alu instid0(VALU_DEP_1) | instskip(SKIP_1) | instid1(VALU_DEP_1)
	s_cmp_lg_u32 s2, 0
	s_add_co_ci_u32 s2, s29, s31
	v_mul_hi_u32 v12, v6, v8
	s_wait_alu 0xfffe
	v_mad_co_u64_u32 v[2:3], null, v6, s2, 0
	v_mad_co_u64_u32 v[8:9], null, v7, v8, 0
	;; [unrolled: 1-line block ×3, first 2 shown]
	s_delay_alu instid0(VALU_DEP_3) | instskip(SKIP_1) | instid1(VALU_DEP_4)
	v_add_co_u32 v2, vcc_lo, v12, v2
	s_wait_alu 0xfffd
	v_add_co_ci_u32_e32 v3, vcc_lo, 0, v3, vcc_lo
	s_delay_alu instid0(VALU_DEP_2) | instskip(SKIP_1) | instid1(VALU_DEP_2)
	v_add_co_u32 v2, vcc_lo, v2, v8
	s_wait_alu 0xfffd
	v_add_co_ci_u32_e32 v2, vcc_lo, v3, v9, vcc_lo
	s_wait_alu 0xfffd
	v_add_co_ci_u32_e32 v3, vcc_lo, 0, v11, vcc_lo
	s_delay_alu instid0(VALU_DEP_2) | instskip(SKIP_1) | instid1(VALU_DEP_2)
	v_add_co_u32 v8, vcc_lo, v2, v10
	s_wait_alu 0xfffd
	v_add_co_ci_u32_e32 v9, vcc_lo, 0, v3, vcc_lo
	s_delay_alu instid0(VALU_DEP_2) | instskip(SKIP_1) | instid1(VALU_DEP_3)
	v_mul_lo_u32 v10, s25, v8
	v_mad_co_u64_u32 v[2:3], null, s24, v8, 0
	v_mul_lo_u32 v11, s24, v9
	s_delay_alu instid0(VALU_DEP_2) | instskip(NEXT) | instid1(VALU_DEP_2)
	v_sub_co_u32 v2, vcc_lo, v6, v2
	v_add3_u32 v3, v3, v11, v10
	s_delay_alu instid0(VALU_DEP_1) | instskip(SKIP_1) | instid1(VALU_DEP_1)
	v_sub_nc_u32_e32 v10, v7, v3
	s_wait_alu 0xfffd
	v_subrev_co_ci_u32_e64 v10, s2, s25, v10, vcc_lo
	v_add_co_u32 v11, s2, v8, 2
	s_wait_alu 0xf1ff
	v_add_co_ci_u32_e64 v12, s2, 0, v9, s2
	v_sub_co_u32 v13, s2, v2, s24
	v_sub_co_ci_u32_e32 v3, vcc_lo, v7, v3, vcc_lo
	s_wait_alu 0xf1ff
	v_subrev_co_ci_u32_e64 v10, s2, 0, v10, s2
	s_delay_alu instid0(VALU_DEP_3) | instskip(NEXT) | instid1(VALU_DEP_3)
	v_cmp_le_u32_e32 vcc_lo, s24, v13
	v_cmp_eq_u32_e64 s2, s25, v3
	s_wait_alu 0xfffd
	v_cndmask_b32_e64 v13, 0, -1, vcc_lo
	v_cmp_le_u32_e32 vcc_lo, s25, v10
	s_wait_alu 0xfffd
	v_cndmask_b32_e64 v14, 0, -1, vcc_lo
	v_cmp_le_u32_e32 vcc_lo, s24, v2
	;; [unrolled: 3-line block ×3, first 2 shown]
	s_wait_alu 0xfffd
	v_cndmask_b32_e64 v15, 0, -1, vcc_lo
	v_cmp_eq_u32_e32 vcc_lo, s25, v10
	s_wait_alu 0xf1ff
	s_delay_alu instid0(VALU_DEP_2)
	v_cndmask_b32_e64 v2, v15, v2, s2
	s_wait_alu 0xfffd
	v_cndmask_b32_e32 v10, v14, v13, vcc_lo
	v_add_co_u32 v13, vcc_lo, v8, 1
	s_wait_alu 0xfffd
	v_add_co_ci_u32_e32 v14, vcc_lo, 0, v9, vcc_lo
	s_delay_alu instid0(VALU_DEP_3) | instskip(SKIP_1) | instid1(VALU_DEP_2)
	v_cmp_ne_u32_e32 vcc_lo, 0, v10
	s_wait_alu 0xfffd
	v_dual_cndmask_b32 v3, v14, v12 :: v_dual_cndmask_b32 v10, v13, v11
	v_cmp_ne_u32_e32 vcc_lo, 0, v2
	s_wait_alu 0xfffd
	s_delay_alu instid0(VALU_DEP_2)
	v_dual_cndmask_b32 v131, v9, v3 :: v_dual_cndmask_b32 v130, v8, v10
.LBB0_4:                                ;   in Loop: Header=BB0_2 Depth=1
	s_wait_alu 0xfffe
	s_and_not1_saveexec_b32 s2, s26
	s_cbranch_execz .LBB0_6
; %bb.5:                                ;   in Loop: Header=BB0_2 Depth=1
	v_cvt_f32_u32_e32 v2, s24
	s_sub_co_i32 s26, 0, s24
	v_mov_b32_e32 v131, v1
	s_delay_alu instid0(VALU_DEP_2) | instskip(NEXT) | instid1(TRANS32_DEP_1)
	v_rcp_iflag_f32_e32 v2, v2
	v_mul_f32_e32 v2, 0x4f7ffffe, v2
	s_delay_alu instid0(VALU_DEP_1) | instskip(SKIP_1) | instid1(VALU_DEP_1)
	v_cvt_u32_f32_e32 v2, v2
	s_wait_alu 0xfffe
	v_mul_lo_u32 v3, s26, v2
	s_delay_alu instid0(VALU_DEP_1) | instskip(NEXT) | instid1(VALU_DEP_1)
	v_mul_hi_u32 v3, v2, v3
	v_add_nc_u32_e32 v2, v2, v3
	s_delay_alu instid0(VALU_DEP_1) | instskip(NEXT) | instid1(VALU_DEP_1)
	v_mul_hi_u32 v2, v6, v2
	v_mul_lo_u32 v3, v2, s24
	v_add_nc_u32_e32 v8, 1, v2
	s_delay_alu instid0(VALU_DEP_2) | instskip(NEXT) | instid1(VALU_DEP_1)
	v_sub_nc_u32_e32 v3, v6, v3
	v_subrev_nc_u32_e32 v9, s24, v3
	v_cmp_le_u32_e32 vcc_lo, s24, v3
	s_wait_alu 0xfffd
	s_delay_alu instid0(VALU_DEP_2) | instskip(NEXT) | instid1(VALU_DEP_1)
	v_dual_cndmask_b32 v3, v3, v9 :: v_dual_cndmask_b32 v2, v2, v8
	v_cmp_le_u32_e32 vcc_lo, s24, v3
	s_delay_alu instid0(VALU_DEP_2) | instskip(SKIP_1) | instid1(VALU_DEP_1)
	v_add_nc_u32_e32 v8, 1, v2
	s_wait_alu 0xfffd
	v_cndmask_b32_e32 v130, v2, v8, vcc_lo
.LBB0_6:                                ;   in Loop: Header=BB0_2 Depth=1
	s_wait_alu 0xfffe
	s_or_b32 exec_lo, exec_lo, s2
	v_mul_lo_u32 v8, v131, s24
	s_delay_alu instid0(VALU_DEP_2)
	v_mul_lo_u32 v9, v130, s25
	s_load_b64 s[26:27], s[18:19], 0x0
	v_mad_co_u64_u32 v[2:3], null, v130, s24, 0
	s_load_b64 s[24:25], s[16:17], 0x0
	s_add_nc_u64 s[20:21], s[20:21], 1
	s_add_nc_u64 s[16:17], s[16:17], 8
	s_wait_alu 0xfffe
	v_cmp_ge_u64_e64 s2, s[20:21], s[10:11]
	s_add_nc_u64 s[18:19], s[18:19], 8
	s_add_nc_u64 s[22:23], s[22:23], 8
	v_add3_u32 v3, v3, v9, v8
	v_sub_co_u32 v2, vcc_lo, v6, v2
	s_wait_alu 0xfffd
	s_delay_alu instid0(VALU_DEP_2) | instskip(SKIP_2) | instid1(VALU_DEP_1)
	v_sub_co_ci_u32_e32 v3, vcc_lo, v7, v3, vcc_lo
	s_and_b32 vcc_lo, exec_lo, s2
	s_wait_kmcnt 0x0
	v_mul_lo_u32 v6, s26, v3
	v_mul_lo_u32 v7, s27, v2
	v_mad_co_u64_u32 v[4:5], null, s26, v2, v[4:5]
	v_mul_lo_u32 v3, s24, v3
	v_mul_lo_u32 v8, s25, v2
	v_mad_co_u64_u32 v[128:129], null, s24, v2, v[128:129]
	s_delay_alu instid0(VALU_DEP_4) | instskip(NEXT) | instid1(VALU_DEP_2)
	v_add3_u32 v5, v7, v5, v6
	v_add3_u32 v129, v8, v129, v3
	s_wait_alu 0xfffe
	s_cbranch_vccnz .LBB0_9
; %bb.7:                                ;   in Loop: Header=BB0_2 Depth=1
	v_dual_mov_b32 v6, v130 :: v_dual_mov_b32 v7, v131
	s_branch .LBB0_2
.LBB0_8:
	v_dual_mov_b32 v129, v5 :: v_dual_mov_b32 v128, v4
	v_dual_mov_b32 v131, v7 :: v_dual_mov_b32 v130, v6
.LBB0_9:
	s_load_b64 s[0:1], s[0:1], 0x28
	v_mul_hi_u32 v1, 0x4924925, v0
	s_lshl_b64 s[10:11], s[10:11], 3
                                        ; implicit-def: $vgpr136
                                        ; implicit-def: $vgpr144
	s_wait_alu 0xfffe
	s_add_nc_u64 s[2:3], s[14:15], s[10:11]
	s_wait_kmcnt 0x0
	v_cmp_gt_u64_e32 vcc_lo, s[0:1], v[130:131]
	v_cmp_le_u64_e64 s0, s[0:1], v[130:131]
	s_delay_alu instid0(VALU_DEP_1)
	s_and_saveexec_b32 s1, s0
	s_wait_alu 0xfffe
	s_xor_b32 s0, exec_lo, s1
; %bb.10:
	v_mul_u32_u24_e32 v1, 56, v1
                                        ; implicit-def: $vgpr4_vgpr5
	s_delay_alu instid0(VALU_DEP_1) | instskip(NEXT) | instid1(VALU_DEP_1)
	v_sub_nc_u32_e32 v136, v0, v1
                                        ; implicit-def: $vgpr1
                                        ; implicit-def: $vgpr0
	v_or_b32_e32 v144, 0x1c0, v136
; %bb.11:
	s_wait_alu 0xfffe
	s_or_saveexec_b32 s1, s0
	s_load_b64 s[2:3], s[2:3], 0x0
                                        ; implicit-def: $vgpr86_vgpr87
                                        ; implicit-def: $vgpr58_vgpr59
                                        ; implicit-def: $vgpr78_vgpr79
                                        ; implicit-def: $vgpr38_vgpr39
                                        ; implicit-def: $vgpr82_vgpr83
                                        ; implicit-def: $vgpr34_vgpr35
                                        ; implicit-def: $vgpr70_vgpr71
                                        ; implicit-def: $vgpr30_vgpr31
                                        ; implicit-def: $vgpr74_vgpr75
                                        ; implicit-def: $vgpr26_vgpr27
                                        ; implicit-def: $vgpr62_vgpr63
                                        ; implicit-def: $vgpr22_vgpr23
                                        ; implicit-def: $vgpr66_vgpr67
                                        ; implicit-def: $vgpr18_vgpr19
                                        ; implicit-def: $vgpr50_vgpr51
                                        ; implicit-def: $vgpr14_vgpr15
                                        ; implicit-def: $vgpr54_vgpr55
                                        ; implicit-def: $vgpr10_vgpr11
                                        ; implicit-def: $vgpr42_vgpr43
                                        ; implicit-def: $vgpr6_vgpr7
                                        ; implicit-def: $vgpr46_vgpr47
                                        ; implicit-def: $vgpr2_vgpr3
	s_xor_b32 exec_lo, exec_lo, s1
	s_cbranch_execz .LBB0_15
; %bb.12:
	s_add_nc_u64 s[10:11], s[12:13], s[10:11]
                                        ; implicit-def: $vgpr56_vgpr57
                                        ; implicit-def: $vgpr84_vgpr85
	s_load_b64 s[10:11], s[10:11], 0x0
	s_wait_kmcnt 0x0
	v_mul_lo_u32 v6, s11, v130
	v_mul_lo_u32 v7, s10, v131
	v_mad_co_u64_u32 v[2:3], null, s10, v130, 0
	s_delay_alu instid0(VALU_DEP_1) | instskip(SKIP_1) | instid1(VALU_DEP_2)
	v_add3_u32 v3, v3, v7, v6
	v_mul_u32_u24_e32 v6, 56, v1
	v_lshlrev_b64_e32 v[1:2], 4, v[2:3]
	v_lshlrev_b64_e32 v[3:4], 4, v[4:5]
	s_delay_alu instid0(VALU_DEP_3) | instskip(NEXT) | instid1(VALU_DEP_3)
	v_sub_nc_u32_e32 v136, v0, v6
	v_add_co_u32 v0, s0, s4, v1
	s_wait_alu 0xf1ff
	s_delay_alu instid0(VALU_DEP_4) | instskip(NEXT) | instid1(VALU_DEP_3)
	v_add_co_ci_u32_e64 v1, s0, s5, v2, s0
	v_lshlrev_b32_e32 v2, 4, v136
	s_delay_alu instid0(VALU_DEP_3) | instskip(SKIP_1) | instid1(VALU_DEP_3)
	v_add_co_u32 v0, s0, v0, v3
	s_wait_alu 0xf1ff
	v_add_co_ci_u32_e64 v1, s0, v1, v4, s0
	s_mov_b32 s4, exec_lo
	s_delay_alu instid0(VALU_DEP_2) | instskip(SKIP_1) | instid1(VALU_DEP_2)
	v_add_co_u32 v86, s0, v0, v2
	s_wait_alu 0xf1ff
	v_add_co_ci_u32_e64 v87, s0, 0, v1, s0
	s_clause 0x13
	global_load_b128 v[0:3], v[86:87], off
	global_load_b128 v[4:7], v[86:87], off offset:896
	global_load_b128 v[44:47], v[86:87], off offset:9408
	;; [unrolled: 1-line block ×19, first 2 shown]
	v_cmpx_gt_u32_e32 28, v136
; %bb.13:
	s_clause 0x1
	global_load_b128 v[56:59], v[86:87], off offset:8960
	global_load_b128 v[84:87], v[86:87], off offset:18368
; %bb.14:
	s_wait_alu 0xfffe
	s_or_b32 exec_lo, exec_lo, s4
	v_or_b32_e32 v144, 0x1c0, v136
.LBB0_15:
	s_or_b32 exec_lo, exec_lo, s1
	s_wait_loadcnt 0x11
	v_add_f64_e64 v[94:95], v[0:1], -v[44:45]
	s_wait_loadcnt 0x0
	v_add_f64_e64 v[90:91], v[56:57], -v[84:85]
	v_add_f64_e64 v[98:99], v[4:5], -v[40:41]
	;; [unrolled: 1-line block ×10, first 2 shown]
	v_add_nc_u32_e32 v139, 56, v136
	v_add_nc_u32_e32 v138, 0x70, v136
	;; [unrolled: 1-line block ×6, first 2 shown]
	v_cmp_gt_u32_e64 s0, 28, v136
	v_fma_f64 v[92:93], v[0:1], 2.0, -v[94:95]
	v_fma_f64 v[88:89], v[56:57], 2.0, -v[90:91]
	;; [unrolled: 1-line block ×11, first 2 shown]
	v_add_nc_u32_e32 v17, 0x188, v136
	v_add_nc_u32_e32 v20, 0x1f8, v136
	;; [unrolled: 1-line block ×3, first 2 shown]
	v_lshl_add_u32 v33, v136, 4, 0
	v_lshl_add_u32 v21, v144, 4, 0
	;; [unrolled: 1-line block ×11, first 2 shown]
	ds_store_b128 v33, v[92:95]
	ds_store_b128 v37, v[96:99]
	;; [unrolled: 1-line block ×10, first 2 shown]
	s_and_saveexec_b32 s1, s0
	s_cbranch_execz .LBB0_17
; %bb.16:
	ds_store_b128 v8, v[88:91]
.LBB0_17:
	s_wait_alu 0xfffe
	s_or_b32 exec_lo, exec_lo, s1
	v_lshl_add_u32 v137, v136, 3, 0
	v_lshlrev_b32_e32 v40, 3, v144
	global_wb scope:SCOPE_SE
	s_wait_dscnt 0x0
	s_wait_kmcnt 0x0
	s_barrier_signal -1
	s_barrier_wait -1
	v_add_nc_u32_e32 v0, 0xc00, v137
	v_add_nc_u32_e32 v1, 0x1000, v137
	;; [unrolled: 1-line block ×3, first 2 shown]
	global_inv scope:SCOPE_SE
	ds_load_2addr_b64 v[112:115], v137 offset1:56
	ds_load_2addr_b64 v[100:103], v0 offset0:120 offset1:204
	ds_load_2addr_b64 v[96:99], v1 offset0:132 offset1:188
	;; [unrolled: 1-line block ×4, first 2 shown]
	v_add_nc_u32_e32 v0, 0x400, v137
	v_add_nc_u32_e32 v1, 0x1800, v137
	v_add_nc_u32_e32 v4, 0x800, v137
	v_add_nc_u32_e32 v5, 0x1c00, v137
	v_sub_nc_u32_e32 v12, v21, v40
	ds_load_2addr_b64 v[120:123], v0 offset0:96 offset1:152
	ds_load_2addr_b64 v[108:111], v1 offset0:100 offset1:156
	;; [unrolled: 1-line block ×4, first 2 shown]
	ds_load_b64 v[12:13], v12
	ds_load_b64 v[0:1], v137 offset:8736
	s_and_saveexec_b32 s1, s0
	s_cbranch_execz .LBB0_19
; %bb.18:
	ds_load_b64 v[88:89], v137 offset:4480
	ds_load_b64 v[90:91], v137 offset:9184
.LBB0_19:
	s_wait_alu 0xfffe
	s_or_b32 exec_lo, exec_lo, s1
	v_add_f64_e64 v[44:45], v[2:3], -v[46:47]
	v_add_f64_e64 v[4:5], v[58:59], -v[86:87]
	;; [unrolled: 1-line block ×11, first 2 shown]
	global_wb scope:SCOPE_SE
	s_wait_dscnt 0x0
	s_barrier_signal -1
	s_barrier_wait -1
	global_inv scope:SCOPE_SE
	v_fma_f64 v[42:43], v[2:3], 2.0, -v[44:45]
	v_fma_f64 v[2:3], v[58:59], 2.0, -v[4:5]
	;; [unrolled: 1-line block ×11, first 2 shown]
	v_sub_nc_u32_e32 v10, 0, v40
	ds_store_b128 v33, v[42:45]
	ds_store_b128 v37, v[46:49]
	;; [unrolled: 1-line block ×10, first 2 shown]
	s_and_saveexec_b32 s1, s0
	s_cbranch_execz .LBB0_21
; %bb.20:
	ds_store_b128 v8, v[2:5]
.LBB0_21:
	s_wait_alu 0xfffe
	s_or_b32 exec_lo, exec_lo, s1
	v_add_nc_u32_e32 v6, 0xc00, v137
	v_add_nc_u32_e32 v11, 0x1000, v137
	;; [unrolled: 1-line block ×3, first 2 shown]
	global_wb scope:SCOPE_SE
	s_wait_dscnt 0x0
	s_barrier_signal -1
	s_barrier_wait -1
	global_inv scope:SCOPE_SE
	ds_load_2addr_b64 v[26:29], v137 offset1:56
	ds_load_2addr_b64 v[6:9], v6 offset0:120 offset1:204
	ds_load_2addr_b64 v[46:49], v11 offset0:132 offset1:188
	;; [unrolled: 1-line block ×4, first 2 shown]
	v_add_nc_u32_e32 v11, 0x400, v137
	v_add_nc_u32_e32 v14, 0x1800, v137
	;; [unrolled: 1-line block ×5, first 2 shown]
	ds_load_2addr_b64 v[38:41], v11 offset0:96 offset1:152
	ds_load_2addr_b64 v[54:57], v14 offset0:100 offset1:156
	;; [unrolled: 1-line block ×4, first 2 shown]
	ds_load_b64 v[132:133], v154
	ds_load_b64 v[134:135], v137 offset:8736
	v_lshlrev_b32_e32 v153, 1, v136
	v_lshlrev_b32_e32 v152, 1, v139
	;; [unrolled: 1-line block ×10, first 2 shown]
	s_and_saveexec_b32 s1, s0
	s_cbranch_execz .LBB0_23
; %bb.22:
	ds_load_b64 v[2:3], v137 offset:4480
	ds_load_b64 v[4:5], v137 offset:9184
.LBB0_23:
	s_wait_alu 0xfffe
	s_or_b32 exec_lo, exec_lo, s1
	v_and_b32_e32 v155, 1, v136
	s_delay_alu instid0(VALU_DEP_1)
	v_lshlrev_b32_e32 v10, 4, v155
	v_and_or_b32 v25, 0xfc, v152, v155
	global_load_b128 v[62:65], v10, s[8:9]
	global_wb scope:SCOPE_SE
	s_wait_loadcnt_dscnt 0x0
	s_barrier_signal -1
	s_barrier_wait -1
	global_inv scope:SCOPE_SE
	v_mul_f64_e32 v[10:11], v[8:9], v[64:65]
	v_mul_f64_e32 v[70:71], v[4:5], v[64:65]
	;; [unrolled: 1-line block ×11, first 2 shown]
	v_fma_f64 v[10:11], v[102:103], v[62:63], -v[10:11]
	v_fma_f64 v[70:71], v[90:91], v[62:63], -v[70:71]
	v_fma_f64 v[14:15], v[96:97], v[62:63], -v[14:15]
	v_fma_f64 v[17:18], v[98:99], v[62:63], -v[17:18]
	v_fma_f64 v[19:20], v[92:93], v[62:63], -v[19:20]
	v_fma_f64 v[21:22], v[94:95], v[62:63], -v[21:22]
	v_fma_f64 v[23:24], v[108:109], v[62:63], -v[23:24]
	v_fma_f64 v[34:35], v[110:111], v[62:63], -v[34:35]
	v_fma_f64 v[36:37], v[104:105], v[62:63], -v[36:37]
	v_fma_f64 v[66:67], v[106:107], v[62:63], -v[66:67]
	v_fma_f64 v[68:69], v[0:1], v[62:63], -v[68:69]
	v_add_f64_e64 v[10:11], v[112:113], -v[10:11]
	v_add_f64_e64 v[82:83], v[88:89], -v[70:71]
	;; [unrolled: 1-line block ×11, first 2 shown]
	v_fma_f64 v[70:71], v[112:113], 2.0, -v[10:11]
	v_fma_f64 v[84:85], v[88:89], 2.0, -v[82:83]
	;; [unrolled: 1-line block ×11, first 2 shown]
	v_lshlrev_b32_e32 v100, 1, v16
	v_and_or_b32 v16, 0x7c, v153, v155
	v_and_or_b32 v88, 0x1fc, v151, v155
	;; [unrolled: 1-line block ×9, first 2 shown]
	v_lshl_add_u32 v101, v16, 3, 0
	v_lshl_add_u32 v112, v25, 3, 0
	v_lshl_add_u32 v113, v88, 3, 0
	v_lshl_add_u32 v114, v89, 3, 0
	v_lshl_add_u32 v115, v115, 3, 0
	v_lshl_add_u32 v116, v116, 3, 0
	v_lshl_add_u32 v117, v117, 3, 0
	v_lshl_add_u32 v118, v118, 3, 0
	v_lshl_add_u32 v119, v119, 3, 0
	v_lshl_add_u32 v120, v120, 3, 0
	ds_store_2addr_b64 v101, v[70:71], v[10:11] offset1:2
	ds_store_2addr_b64 v112, v[72:73], v[14:15] offset1:2
	;; [unrolled: 1-line block ×10, first 2 shown]
	s_and_saveexec_b32 s1, s0
	s_cbranch_execz .LBB0_25
; %bb.24:
	v_and_or_b32 v10, 0x4fc, v100, v155
	s_delay_alu instid0(VALU_DEP_1)
	v_lshl_add_u32 v10, v10, 3, 0
	ds_store_2addr_b64 v10, v[84:85], v[82:83] offset1:2
.LBB0_25:
	s_wait_alu 0xfffe
	s_or_b32 exec_lo, exec_lo, s1
	v_add_nc_u32_e32 v18, 0x1400, v137
	v_add_nc_u32_e32 v10, 0xc00, v137
	;; [unrolled: 1-line block ×7, first 2 shown]
	global_wb scope:SCOPE_SE
	s_wait_dscnt 0x0
	s_barrier_signal -1
	s_barrier_wait -1
	global_inv scope:SCOPE_SE
	ds_load_2addr_b64 v[66:69], v137 offset1:56
	ds_load_2addr_b64 v[14:17], v10 offset0:120 offset1:204
	ds_load_2addr_b64 v[10:13], v11 offset0:132 offset1:188
	ds_load_2addr_b64 v[70:73], v137 offset0:112 offset1:168
	ds_load_2addr_b64 v[34:37], v18 offset0:116 offset1:172
	ds_load_2addr_b64 v[74:77], v19 offset0:96 offset1:152
	ds_load_2addr_b64 v[22:25], v20 offset0:100 offset1:156
	ds_load_2addr_b64 v[78:81], v21 offset0:80 offset1:136
	ds_load_2addr_b64 v[18:21], v86 offset0:84 offset1:140
	ds_load_b64 v[88:89], v154
	ds_load_b64 v[86:87], v137 offset:8736
	s_and_saveexec_b32 s1, s0
	s_cbranch_execz .LBB0_27
; %bb.26:
	ds_load_b64 v[84:85], v137 offset:4480
	ds_load_b64 v[82:83], v137 offset:9184
.LBB0_27:
	s_wait_alu 0xfffe
	s_or_b32 exec_lo, exec_lo, s1
	v_mul_f64_e32 v[102:103], v[102:103], v[64:65]
	v_mul_f64_e32 v[96:97], v[96:97], v[64:65]
	;; [unrolled: 1-line block ×11, first 2 shown]
	global_wb scope:SCOPE_SE
	s_wait_dscnt 0x0
	s_barrier_signal -1
	s_barrier_wait -1
	global_inv scope:SCOPE_SE
	v_fma_f64 v[8:9], v[8:9], v[62:63], v[102:103]
	v_fma_f64 v[46:47], v[46:47], v[62:63], v[96:97]
	v_fma_f64 v[48:49], v[48:49], v[62:63], v[98:99]
	v_fma_f64 v[50:51], v[50:51], v[62:63], v[92:93]
	v_fma_f64 v[52:53], v[52:53], v[62:63], v[94:95]
	v_fma_f64 v[54:55], v[54:55], v[62:63], v[108:109]
	v_fma_f64 v[56:57], v[56:57], v[62:63], v[110:111]
	v_fma_f64 v[58:59], v[58:59], v[62:63], v[104:105]
	v_fma_f64 v[60:61], v[60:61], v[62:63], v[106:107]
	v_fma_f64 v[0:1], v[134:135], v[62:63], v[0:1]
	v_fma_f64 v[4:5], v[4:5], v[62:63], v[64:65]
	v_add_f64_e64 v[8:9], v[26:27], -v[8:9]
	v_add_f64_e64 v[46:47], v[28:29], -v[46:47]
	;; [unrolled: 1-line block ×11, first 2 shown]
	v_fma_f64 v[4:5], v[26:27], 2.0, -v[8:9]
	v_fma_f64 v[26:27], v[28:29], 2.0, -v[46:47]
	;; [unrolled: 1-line block ×11, first 2 shown]
	ds_store_2addr_b64 v101, v[4:5], v[8:9] offset1:2
	ds_store_2addr_b64 v112, v[26:27], v[46:47] offset1:2
	;; [unrolled: 1-line block ×10, first 2 shown]
	s_and_saveexec_b32 s1, s0
	s_cbranch_execz .LBB0_29
; %bb.28:
	v_and_or_b32 v0, 0x4fc, v100, v155
	s_delay_alu instid0(VALU_DEP_1)
	v_lshl_add_u32 v0, v0, 3, 0
	ds_store_2addr_b64 v0, v[64:65], v[62:63] offset1:2
.LBB0_29:
	s_wait_alu 0xfffe
	s_or_b32 exec_lo, exec_lo, s1
	v_add_nc_u32_e32 v0, 0xc00, v137
	v_add_nc_u32_e32 v8, 0x1000, v137
	global_wb scope:SCOPE_SE
	s_wait_dscnt 0x0
	s_barrier_signal -1
	s_barrier_wait -1
	global_inv scope:SCOPE_SE
	ds_load_2addr_b64 v[4:7], v137 offset1:56
	ds_load_2addr_b64 v[0:3], v0 offset0:120 offset1:204
	ds_load_2addr_b64 v[46:49], v8 offset0:132 offset1:188
	;; [unrolled: 1-line block ×3, first 2 shown]
	v_add_nc_u32_e32 v8, 0x1400, v137
	v_add_nc_u32_e32 v9, 0x400, v137
	;; [unrolled: 1-line block ×5, first 2 shown]
	ds_load_2addr_b64 v[50:53], v8 offset0:116 offset1:172
	ds_load_2addr_b64 v[38:41], v9 offset0:96 offset1:152
	;; [unrolled: 1-line block ×5, first 2 shown]
	ds_load_b64 v[8:9], v154
	ds_load_b64 v[90:91], v137 offset:8736
	s_and_saveexec_b32 s1, s0
	s_cbranch_execz .LBB0_31
; %bb.30:
	ds_load_b64 v[64:65], v137 offset:4480
	ds_load_b64 v[62:63], v137 offset:9184
.LBB0_31:
	s_wait_alu 0xfffe
	s_or_b32 exec_lo, exec_lo, s1
	v_and_b32_e32 v97, 3, v136
	s_delay_alu instid0(VALU_DEP_1)
	v_lshlrev_b32_e32 v26, 4, v97
	global_load_b128 v[26:29], v26, s[8:9] offset:32
	global_wb scope:SCOPE_SE
	s_wait_loadcnt_dscnt 0x0
	s_barrier_signal -1
	s_barrier_wait -1
	global_inv scope:SCOPE_SE
	v_mul_f64_e32 v[92:93], v[2:3], v[28:29]
	v_mul_f64_e32 v[94:95], v[46:47], v[28:29]
	;; [unrolled: 1-line block ×10, first 2 shown]
	v_fma_f64 v[92:93], v[16:17], v[26:27], -v[92:93]
	v_fma_f64 v[94:95], v[10:11], v[26:27], -v[94:95]
	;; [unrolled: 1-line block ×10, first 2 shown]
	v_add_f64_e64 v[92:93], v[66:67], -v[92:93]
	v_add_f64_e64 v[94:95], v[68:69], -v[94:95]
	;; [unrolled: 1-line block ×10, first 2 shown]
	v_fma_f64 v[115:116], v[66:67], 2.0, -v[92:93]
	v_fma_f64 v[117:118], v[68:69], 2.0, -v[94:95]
	;; [unrolled: 1-line block ×10, first 2 shown]
	v_and_or_b32 v66, 0x78, v153, v97
	v_and_or_b32 v67, 0xf8, v152, v97
	;; [unrolled: 1-line block ×10, first 2 shown]
	v_lshl_add_u32 v66, v66, 3, 0
	v_lshl_add_u32 v67, v67, 3, 0
	;; [unrolled: 1-line block ×10, first 2 shown]
	ds_store_2addr_b64 v66, v[115:116], v[92:93] offset1:4
	ds_store_2addr_b64 v67, v[117:118], v[94:95] offset1:4
	;; [unrolled: 1-line block ×10, first 2 shown]
	s_and_saveexec_b32 s1, s0
	s_cbranch_execz .LBB0_33
; %bb.32:
	v_mul_f64_e32 v[14:15], v[62:63], v[28:29]
	v_and_or_b32 v78, 0x4f8, v100, v97
	s_delay_alu instid0(VALU_DEP_1) | instskip(NEXT) | instid1(VALU_DEP_3)
	v_lshl_add_u32 v78, v78, 3, 0
	v_fma_f64 v[14:15], v[82:83], v[26:27], -v[14:15]
	s_delay_alu instid0(VALU_DEP_1) | instskip(NEXT) | instid1(VALU_DEP_1)
	v_add_f64_e64 v[14:15], v[84:85], -v[14:15]
	v_fma_f64 v[76:77], v[84:85], 2.0, -v[14:15]
	ds_store_2addr_b64 v78, v[76:77], v[14:15] offset1:4
.LBB0_33:
	s_wait_alu 0xfffe
	s_or_b32 exec_lo, exec_lo, s1
	v_mul_f64_e32 v[14:15], v[16:17], v[28:29]
	v_mul_f64_e32 v[10:11], v[10:11], v[28:29]
	;; [unrolled: 1-line block ×10, first 2 shown]
	v_add_nc_u32_e32 v93, 0x800, v137
	v_add_nc_u32_e32 v92, 0x1800, v137
	global_wb scope:SCOPE_SE
	s_wait_dscnt 0x0
	s_barrier_signal -1
	s_barrier_wait -1
	global_inv scope:SCOPE_SE
	v_add_nc_u32_e32 v94, 0x1000, v137
	v_add_nc_u32_e32 v95, 0x400, v137
	;; [unrolled: 1-line block ×3, first 2 shown]
	v_fma_f64 v[2:3], v[2:3], v[26:27], v[14:15]
	v_fma_f64 v[10:11], v[46:47], v[26:27], v[10:11]
	;; [unrolled: 1-line block ×10, first 2 shown]
	v_add_f64_e64 v[56:57], v[4:5], -v[2:3]
	v_add_f64_e64 v[58:59], v[6:7], -v[10:11]
	;; [unrolled: 1-line block ×10, first 2 shown]
	v_fma_f64 v[80:81], v[4:5], 2.0, -v[56:57]
	v_fma_f64 v[84:85], v[6:7], 2.0, -v[58:59]
	v_fma_f64 v[30:31], v[30:31], 2.0, -v[60:61]
	v_fma_f64 v[86:87], v[32:33], 2.0, -v[76:77]
	v_fma_f64 v[90:91], v[38:39], 2.0, -v[16:17]
	v_fma_f64 v[98:99], v[40:41], 2.0, -v[22:23]
	v_fma_f64 v[101:102], v[42:43], 2.0, -v[24:25]
	v_fma_f64 v[103:104], v[44:45], 2.0, -v[18:19]
	v_fma_f64 v[105:106], v[8:9], 2.0, -v[20:21]
	v_fma_f64 v[107:108], v[0:1], 2.0, -v[78:79]
	ds_load_2addr_b64 v[0:3], v137 offset1:56
	ds_load_2addr_b64 v[4:7], v137 offset0:112 offset1:168
	ds_load_b64 v[88:89], v137 offset:8960
	ds_load_2addr_b64 v[8:11], v93 offset0:80 offset1:136
	ds_load_2addr_b64 v[52:55], v92 offset0:16 offset1:72
	;; [unrolled: 1-line block ×8, first 2 shown]
	global_wb scope:SCOPE_SE
	s_wait_dscnt 0x0
	s_barrier_signal -1
	s_barrier_wait -1
	global_inv scope:SCOPE_SE
	ds_store_2addr_b64 v66, v[80:81], v[56:57] offset1:4
	ds_store_2addr_b64 v67, v[84:85], v[58:59] offset1:4
	;; [unrolled: 1-line block ×10, first 2 shown]
	s_and_saveexec_b32 s1, s0
	s_cbranch_execz .LBB0_35
; %bb.34:
	v_mul_f64_e32 v[16:17], v[82:83], v[28:29]
	v_and_or_b32 v20, 0x4f8, v100, v97
	s_delay_alu instid0(VALU_DEP_1) | instskip(NEXT) | instid1(VALU_DEP_3)
	v_lshl_add_u32 v20, v20, 3, 0
	v_fma_f64 v[16:17], v[62:63], v[26:27], v[16:17]
	s_delay_alu instid0(VALU_DEP_1) | instskip(NEXT) | instid1(VALU_DEP_1)
	v_add_f64_e64 v[16:17], v[64:65], -v[16:17]
	v_fma_f64 v[18:19], v[64:65], 2.0, -v[16:17]
	ds_store_2addr_b64 v20, v[18:19], v[16:17] offset1:4
.LBB0_35:
	s_wait_alu 0xfffe
	s_or_b32 exec_lo, exec_lo, s1
	v_and_b32_e32 v97, 7, v136
	global_wb scope:SCOPE_SE
	s_wait_dscnt 0x0
	s_barrier_signal -1
	s_barrier_wait -1
	global_inv scope:SCOPE_SE
	v_lshlrev_b32_e32 v16, 5, v97
	v_lshrrev_b32_e32 v98, 3, v136
	v_lshrrev_b32_e32 v99, 3, v139
	;; [unrolled: 1-line block ×4, first 2 shown]
	s_clause 0x1
	global_load_b128 v[56:59], v16, s[8:9] offset:112
	global_load_b128 v[60:63], v16, s[8:9] offset:96
	ds_load_2addr_b64 v[68:71], v92 offset0:16 offset1:72
	ds_load_2addr_b64 v[64:67], v93 offset0:192 offset1:248
	ds_load_2addr_b64 v[24:27], v137 offset1:56
	ds_load_2addr_b64 v[72:75], v92 offset0:128 offset1:184
	ds_load_2addr_b64 v[16:19], v93 offset0:80 offset1:136
	;; [unrolled: 1-line block ×7, first 2 shown]
	ds_load_b64 v[90:91], v137 offset:8960
	v_lshrrev_b32_e32 v127, 3, v142
	v_lshrrev_b32_e32 v140, 3, v141
	v_and_b32_e32 v141, 0xff, v136
	v_and_b32_e32 v142, 0xff, v139
	v_mul_u32_u24_e32 v161, 24, v98
	v_mul_u32_u24_e32 v162, 24, v99
	;; [unrolled: 1-line block ×5, first 2 shown]
	v_mul_lo_u16 v167, 0xab, v141
	v_mul_lo_u16 v168, 0xab, v142
	v_lshrrev_b32_e32 v100, 3, v138
	v_mul_u32_u24_e32 v127, 24, v127
	s_mov_b32 s0, 0xe8584caa
	s_mov_b32 s1, 0x3febb67a
	;; [unrolled: 1-line block ×3, first 2 shown]
	v_mul_u32_u24_e32 v163, 24, v100
	s_wait_alu 0xfffe
	s_mov_b32 s4, s0
	v_and_b32_e32 v160, 0xff, v138
	global_wb scope:SCOPE_SE
	s_wait_loadcnt_dscnt 0x0
	s_barrier_signal -1
	s_barrier_wait -1
	global_inv scope:SCOPE_SE
	s_mov_b32 s12, 0x37e14327
	s_mov_b32 s18, 0x36b3c0b5
	;; [unrolled: 1-line block ×10, first 2 shown]
	s_wait_alu 0xfffe
	s_mov_b32 s16, s10
	s_mov_b32 s23, 0x3fd5d0dc
	;; [unrolled: 1-line block ×6, first 2 shown]
	v_mul_f64_e32 v[101:102], v[68:69], v[58:59]
	v_mul_f64_e32 v[105:106], v[18:19], v[62:63]
	;; [unrolled: 1-line block ×28, first 2 shown]
	v_fma_f64 v[52:53], v[52:53], v[56:57], -v[101:102]
	v_fma_f64 v[10:11], v[10:11], v[60:61], -v[105:106]
	;; [unrolled: 1-line block ×4, first 2 shown]
	v_fma_f64 v[98:99], v[18:19], v[60:61], v[98:99]
	v_fma_f64 v[68:69], v[68:69], v[56:57], v[134:135]
	v_fma_f64 v[46:47], v[46:47], v[56:57], -v[113:114]
	v_fma_f64 v[40:41], v[40:41], v[60:61], -v[115:116]
	;; [unrolled: 1-line block ×6, first 2 shown]
	v_fma_f64 v[64:65], v[64:65], v[60:61], v[140:141]
	v_fma_f64 v[70:71], v[70:71], v[56:57], v[142:143]
	;; [unrolled: 1-line block ×6, first 2 shown]
	v_fma_f64 v[100:101], v[32:33], v[60:61], -v[121:122]
	v_fma_f64 v[38:39], v[38:39], v[56:57], -v[123:124]
	;; [unrolled: 1-line block ×4, first 2 shown]
	v_fma_f64 v[86:87], v[86:87], v[60:61], v[152:153]
	v_fma_f64 v[80:81], v[80:81], v[56:57], v[154:155]
	;; [unrolled: 1-line block ×6, first 2 shown]
	v_lshrrev_b16 v32, 12, v168
	v_or_b32_e32 v102, v161, v97
	v_or_b32_e32 v103, v162, v97
	;; [unrolled: 1-line block ×7, first 2 shown]
	v_mul_lo_u16 v97, v32, 24
	v_lshl_add_u32 v147, v102, 3, 0
	v_lshl_add_u32 v148, v103, 3, 0
	v_add_f64_e32 v[58:59], v[10:11], v[52:53]
	v_lshl_add_u32 v152, v19, 3, 0
	v_sub_nc_u16 v97, v139, v97
	v_add_f64_e32 v[102:103], v[42:43], v[36:37]
	v_add_f64_e64 v[110:111], v[98:99], -v[68:69]
	v_add_f64_e32 v[112:113], v[24:25], v[98:99]
	v_add_f64_e32 v[90:91], v[40:41], v[46:47]
	v_and_b32_e32 v19, 0xff, v97
	v_add_f64_e32 v[97:98], v[98:99], v[68:69]
	v_add_f64_e32 v[62:63], v[48:49], v[54:55]
	;; [unrolled: 1-line block ×3, first 2 shown]
	v_lshl_add_u32 v149, v106, 3, 0
	v_add_f64_e32 v[116:117], v[64:65], v[70:71]
	v_lshl_add_u32 v150, v108, 3, 0
	v_add_f64_e32 v[120:121], v[66:67], v[72:73]
	;; [unrolled: 2-line block ×3, first 2 shown]
	v_add_f64_e32 v[108:109], v[0:1], v[10:11]
	v_add_f64_e32 v[104:105], v[100:101], v[38:39]
	v_add_f64_e64 v[10:11], v[10:11], -v[52:53]
	v_add_f64_e32 v[106:107], v[34:35], v[88:89]
	v_add_f64_e32 v[134:135], v[12:13], v[42:43]
	;; [unrolled: 1-line block ×3, first 2 shown]
	v_add_f64_e64 v[118:119], v[64:65], -v[70:71]
	v_add_f64_e32 v[139:140], v[76:77], v[82:83]
	v_add_f64_e32 v[126:127], v[6:7], v[40:41]
	;; [unrolled: 1-line block ×5, first 2 shown]
	v_add_f64_e64 v[48:49], v[48:49], -v[54:55]
	v_add_f64_e64 v[50:51], v[50:51], -v[44:45]
	;; [unrolled: 1-line block ×3, first 2 shown]
	v_add_f64_e32 v[141:142], v[14:15], v[100:101]
	v_add_f64_e32 v[145:146], v[8:9], v[34:35]
	v_add_f64_e64 v[42:43], v[42:43], -v[36:37]
	v_add_f64_e64 v[99:100], v[100:101], -v[38:39]
	;; [unrolled: 1-line block ×3, first 2 shown]
	v_lshrrev_b16 v33, 12, v167
	v_fma_f64 v[0:1], v[58:59], -0.5, v[0:1]
	v_add_f64_e32 v[58:59], v[26:27], v[64:65]
	v_add_f64_e64 v[64:65], v[84:85], -v[74:75]
	v_fma_f64 v[12:13], v[102:103], -0.5, v[12:13]
	v_add_f64_e64 v[102:103], v[60:61], -v[56:57]
	v_add_f64_e32 v[60:61], v[16:17], v[60:61]
	v_fma_f64 v[6:7], v[90:91], -0.5, v[6:7]
	v_add_f64_e64 v[90:91], v[76:77], -v[82:83]
	v_fma_f64 v[24:25], v[97:98], -0.5, v[24:25]
	v_add_f64_e32 v[84:85], v[30:31], v[84:85]
	v_add_f64_e32 v[76:77], v[22:23], v[76:77]
	v_fma_f64 v[2:3], v[62:63], -0.5, v[2:3]
	v_add_f64_e64 v[62:63], v[66:67], -v[72:73]
	v_fma_f64 v[4:5], v[78:79], -0.5, v[4:5]
	v_add_f64_e64 v[78:79], v[86:87], -v[80:81]
	v_add_f64_e32 v[66:67], v[28:29], v[66:67]
	v_add_f64_e32 v[86:87], v[20:21], v[86:87]
	v_fma_f64 v[26:27], v[116:117], -0.5, v[26:27]
	v_fma_f64 v[28:29], v[120:121], -0.5, v[28:29]
	;; [unrolled: 1-line block ×6, first 2 shown]
	v_add_f64_e32 v[52:53], v[108:109], v[52:53]
	v_fma_f64 v[22:23], v[139:140], -0.5, v[22:23]
	v_add_f64_e32 v[68:69], v[112:113], v[68:69]
	v_fma_f64 v[16:17], v[143:144], -0.5, v[16:17]
	v_add_f64_e32 v[54:55], v[114:115], v[54:55]
	v_add_f64_e32 v[44:45], v[122:123], v[44:45]
	;; [unrolled: 1-line block ×4, first 2 shown]
	v_mul_lo_u16 v18, v33, 24
	v_add_f64_e32 v[38:39], v[141:142], v[38:39]
	v_add_f64_e32 v[88:89], v[145:146], v[88:89]
	v_mul_u32_u24_e32 v116, 6, v19
	s_delay_alu instid0(VALU_DEP_4) | instskip(SKIP_3) | instid1(VALU_DEP_4)
	v_sub_nc_u16 v18, v136, v18
	v_fma_f64 v[97:98], v[110:111], s[0:1], v[0:1]
	v_fma_f64 v[0:1], v[110:111], s[4:5], v[0:1]
	v_add_f64_e32 v[58:59], v[58:59], v[70:71]
	v_and_b32_e32 v18, 0xff, v18
	v_add_f64_e32 v[56:57], v[60:61], v[56:57]
	v_fma_f64 v[60:61], v[10:11], s[4:5], v[24:25]
	v_add_f64_e32 v[70:71], v[84:85], v[74:75]
	v_add_f64_e32 v[74:75], v[76:77], v[82:83]
	v_fma_f64 v[76:77], v[10:11], s[0:1], v[24:25]
	v_fma_f64 v[104:105], v[118:119], s[0:1], v[2:3]
	;; [unrolled: 1-line block ×4, first 2 shown]
	v_add_f64_e32 v[66:67], v[66:67], v[72:73]
	v_add_f64_e32 v[72:73], v[86:87], v[80:81]
	v_fma_f64 v[80:81], v[48:49], s[4:5], v[26:27]
	v_fma_f64 v[48:49], v[48:49], s[0:1], v[26:27]
	;; [unrolled: 1-line block ×21, first 2 shown]
	v_mul_u32_u24_e32 v153, 6, v18
	v_lshl_add_u32 v103, v161, 3, 0
	ds_store_2addr_b64 v147, v[52:53], v[97:98] offset1:8
	ds_store_b64 v147, v[0:1] offset:128
	ds_store_2addr_b64 v148, v[54:55], v[104:105] offset1:8
	ds_store_b64 v148, v[2:3] offset:128
	;; [unrolled: 2-line block ×7, first 2 shown]
	v_lshlrev_b32_e32 v117, 4, v153
	global_wb scope:SCOPE_SE
	s_wait_dscnt 0x0
	s_barrier_signal -1
	s_barrier_wait -1
	global_inv scope:SCOPE_SE
	ds_load_2addr_b64 v[4:7], v137 offset1:56
	ds_load_2addr_b64 v[0:3], v137 offset0:112 offset1:168
	ds_load_2addr_b64 v[8:11], v93 offset0:80 offset1:136
	ds_load_2addr_b64 v[14:17], v93 offset0:192 offset1:248
	ds_load_2addr_b64 v[20:23], v94 offset0:160 offset1:216
	ds_load_2addr_b64 v[24:27], v92 offset0:16 offset1:72
	ds_load_2addr_b64 v[28:31], v96 offset0:112 offset1:168
	ds_load_2addr_b64 v[34:37], v95 offset0:96 offset1:152
	ds_load_2addr_b64 v[38:41], v94 offset0:48 offset1:104
	ds_load_2addr_b64 v[42:45], v92 offset0:128 offset1:184
	ds_load_b64 v[90:91], v137 offset:8960
	global_wb scope:SCOPE_SE
	s_wait_dscnt 0x0
	s_barrier_signal -1
	s_barrier_wait -1
	global_inv scope:SCOPE_SE
	ds_store_2addr_b64 v147, v[68:69], v[60:61] offset1:8
	ds_store_b64 v147, v[76:77] offset:128
	ds_store_2addr_b64 v148, v[58:59], v[80:81] offset1:8
	ds_store_b64 v148, v[48:49] offset:128
	;; [unrolled: 2-line block ×7, first 2 shown]
	v_lshlrev_b32_e32 v113, 4, v116
	v_mul_lo_u16 v12, 0xab, v160
	global_wb scope:SCOPE_SE
	s_wait_dscnt 0x0
	s_barrier_signal -1
	s_barrier_wait -1
	global_inv scope:SCOPE_SE
	s_clause 0x3
	global_load_b128 v[46:49], v117, s[8:9] offset:368
	global_load_b128 v[54:57], v117, s[8:9] offset:432
	;; [unrolled: 1-line block ×4, first 2 shown]
	v_lshrrev_b16 v13, 12, v12
	s_mov_b32 s0, 0x429ad128
	s_mov_b32 s1, 0x3febfeb5
	;; [unrolled: 1-line block ×4, first 2 shown]
	v_mul_lo_u16 v12, v13, 24
	v_and_b32_e32 v127, 0xffff, v13
	s_delay_alu instid0(VALU_DEP_2) | instskip(NEXT) | instid1(VALU_DEP_1)
	v_sub_nc_u16 v12, v138, v12
	v_and_b32_e32 v12, 0xff, v12
	s_delay_alu instid0(VALU_DEP_1) | instskip(NEXT) | instid1(VALU_DEP_1)
	v_mul_u32_u24_e32 v62, 6, v12
	v_lshlrev_b32_e32 v121, 4, v62
	s_clause 0xd
	global_load_b128 v[62:65], v113, s[8:9] offset:352
	global_load_b128 v[66:69], v121, s[8:9] offset:352
	;; [unrolled: 1-line block ×14, first 2 shown]
	ds_load_2addr_b64 v[132:135], v93 offset0:80 offset1:136
	ds_load_2addr_b64 v[139:142], v96 offset0:112 offset1:168
	;; [unrolled: 1-line block ×4, first 2 shown]
	s_wait_loadcnt_dscnt 0x1103
	v_mul_f64_e32 v[125:126], v[132:133], v[48:49]
	v_mul_f64_e32 v[48:49], v[8:9], v[48:49]
	s_wait_loadcnt 0xf
	v_mul_f64_e32 v[151:152], v[134:135], v[52:53]
	v_mul_f64_e32 v[52:53], v[10:11], v[52:53]
	s_wait_dscnt 0x2
	v_mul_f64_e32 v[153:154], v[139:140], v[56:57]
	v_mul_f64_e32 v[56:57], v[28:29], v[56:57]
	s_wait_loadcnt 0xe
	v_mul_f64_e32 v[155:156], v[141:142], v[60:61]
	v_mul_f64_e32 v[60:61], v[30:31], v[60:61]
	s_wait_loadcnt_dscnt 0xd01
	v_mul_f64_e32 v[157:158], v[143:144], v[64:65]
	v_mul_f64_e32 v[64:65], v[34:35], v[64:65]
	s_wait_loadcnt 0xc
	v_mul_f64_e32 v[159:160], v[145:146], v[68:69]
	v_mul_f64_e32 v[68:69], v[36:37], v[68:69]
	s_wait_loadcnt_dscnt 0xb00
	v_mul_f64_e32 v[161:162], v[149:150], v[72:73]
	v_mul_f64_e32 v[72:73], v[16:17], v[72:73]
	v_fma_f64 v[125:126], v[8:9], v[46:47], -v[125:126]
	v_fma_f64 v[132:133], v[132:133], v[46:47], v[48:49]
	v_fma_f64 v[151:152], v[10:11], v[50:51], -v[151:152]
	v_fma_f64 v[134:135], v[134:135], v[50:51], v[52:53]
	ds_load_2addr_b64 v[8:11], v137 offset0:112 offset1:168
	ds_load_2addr_b64 v[46:49], v94 offset0:160 offset1:216
	;; [unrolled: 1-line block ×3, first 2 shown]
	v_fma_f64 v[153:154], v[28:29], v[54:55], -v[153:154]
	v_fma_f64 v[54:55], v[139:140], v[54:55], v[56:57]
	v_fma_f64 v[56:57], v[30:31], v[58:59], -v[155:156]
	ds_load_2addr_b64 v[28:31], v92 offset0:128 offset1:184
	v_fma_f64 v[58:59], v[141:142], v[58:59], v[60:61]
	ds_load_b64 v[60:61], v137 offset:8960
	s_wait_loadcnt 0xa
	v_mul_f64_e32 v[139:140], v[147:148], v[76:77]
	v_mul_f64_e32 v[76:77], v[14:15], v[76:77]
	v_fma_f64 v[155:156], v[34:35], v[62:63], -v[157:158]
	v_fma_f64 v[62:63], v[143:144], v[62:63], v[64:65]
	v_fma_f64 v[143:144], v[36:37], v[66:67], -v[159:160]
	s_wait_loadcnt_dscnt 0x904
	v_mul_f64_e32 v[141:142], v[10:11], v[80:81]
	v_mul_f64_e32 v[80:81], v[2:3], v[80:81]
	s_wait_loadcnt_dscnt 0x702
	v_mul_f64_e32 v[157:158], v[52:53], v[88:89]
	v_mul_f64_e32 v[64:65], v[46:47], v[84:85]
	;; [unrolled: 1-line block ×3, first 2 shown]
	v_fma_f64 v[66:67], v[145:146], v[66:67], v[68:69]
	s_wait_loadcnt_dscnt 0x601
	v_mul_f64_e32 v[68:69], v[28:29], v[99:100]
	v_mul_f64_e32 v[88:89], v[26:27], v[88:89]
	s_wait_loadcnt 0x5
	v_mul_f64_e32 v[145:146], v[30:31], v[103:104]
	v_fma_f64 v[16:17], v[16:17], v[70:71], -v[161:162]
	v_fma_f64 v[70:71], v[149:150], v[70:71], v[72:73]
	s_wait_loadcnt_dscnt 0x400
	v_mul_f64_e32 v[72:73], v[60:61], v[107:108]
	ds_load_2addr_b64 v[34:37], v94 offset0:48 offset1:104
	v_mul_f64_e32 v[99:100], v[42:43], v[99:100]
	v_fma_f64 v[139:140], v[14:15], v[74:75], -v[139:140]
	v_fma_f64 v[74:75], v[147:148], v[74:75], v[76:77]
	s_wait_loadcnt_dscnt 0x300
	v_mul_f64_e32 v[14:15], v[34:35], v[111:112]
	v_fma_f64 v[2:3], v[2:3], v[78:79], -v[141:142]
	v_fma_f64 v[10:11], v[10:11], v[78:79], v[80:81]
	v_mul_f64_e32 v[78:79], v[44:45], v[103:104]
	v_mul_f64_e32 v[80:81], v[90:91], v[107:108]
	v_fma_f64 v[26:27], v[26:27], v[86:87], -v[157:158]
	v_fma_f64 v[20:21], v[20:21], v[82:83], -v[64:65]
	v_fma_f64 v[46:47], v[46:47], v[82:83], v[84:85]
	v_mul_f64_e32 v[64:65], v[38:39], v[111:112]
	s_wait_loadcnt 0x2
	v_mul_f64_e32 v[82:83], v[48:49], v[115:116]
	v_mul_f64_e32 v[84:85], v[22:23], v[115:116]
	v_fma_f64 v[42:43], v[42:43], v[97:98], -v[68:69]
	v_fma_f64 v[52:53], v[52:53], v[86:87], v[88:89]
	s_wait_loadcnt 0x1
	v_mul_f64_e32 v[86:87], v[36:37], v[119:120]
	v_fma_f64 v[44:45], v[44:45], v[101:102], -v[145:146]
	v_mul_f64_e32 v[68:69], v[40:41], v[119:120]
	s_wait_loadcnt 0x0
	v_mul_f64_e32 v[88:89], v[50:51], v[123:124]
	v_fma_f64 v[72:73], v[90:91], v[105:106], -v[72:73]
	v_mul_f64_e32 v[90:91], v[24:25], v[123:124]
	v_fma_f64 v[28:29], v[28:29], v[97:98], v[99:100]
	v_and_b32_e32 v97, 0xffff, v33
	v_fma_f64 v[14:15], v[38:39], v[109:110], -v[14:15]
	v_add_f64_e32 v[38:39], v[2:3], v[153:154]
	v_add_f64_e64 v[2:3], v[2:3], -v[153:154]
	v_fma_f64 v[30:31], v[30:31], v[101:102], v[78:79]
	v_fma_f64 v[60:61], v[60:61], v[105:106], v[80:81]
	v_add_f64_e32 v[76:77], v[125:126], v[26:27]
	v_mul_u32_u24_e32 v153, 0x540, v97
	v_add_f64_e64 v[26:27], v[125:126], -v[26:27]
	v_fma_f64 v[34:35], v[34:35], v[109:110], v[64:65]
	v_fma_f64 v[22:23], v[22:23], v[113:114], -v[82:83]
	v_fma_f64 v[48:49], v[48:49], v[113:114], v[84:85]
	v_add_f64_e32 v[64:65], v[155:156], v[56:57]
	v_add_f64_e32 v[78:79], v[151:152], v[42:43]
	v_fma_f64 v[40:41], v[40:41], v[117:118], -v[86:87]
	v_add_f64_e32 v[80:81], v[139:140], v[44:45]
	v_fma_f64 v[36:37], v[36:37], v[117:118], v[68:69]
	v_fma_f64 v[24:25], v[24:25], v[121:122], -v[88:89]
	v_add_f64_e32 v[68:69], v[143:144], v[72:73]
	v_fma_f64 v[50:51], v[50:51], v[121:122], v[90:91]
	v_add_f64_e32 v[82:83], v[10:11], v[54:55]
	v_add_f64_e32 v[84:85], v[132:133], v[52:53]
	v_add_f64_e32 v[86:87], v[16:17], v[20:21]
	v_add_f64_e32 v[88:89], v[70:71], v[46:47]
	v_add_f64_e64 v[20:21], v[20:21], -v[16:17]
	v_add_f64_e64 v[46:47], v[46:47], -v[70:71]
	v_and_b32_e32 v17, 0xffff, v32
	v_add_f64_e32 v[32:33], v[62:63], v[58:59]
	v_add_f64_e32 v[70:71], v[134:135], v[28:29]
	v_add_f64_e64 v[10:11], v[10:11], -v[54:55]
	v_add_f64_e64 v[52:53], v[132:133], -v[52:53]
	;; [unrolled: 1-line block ×8, first 2 shown]
	v_add_f64_e32 v[90:91], v[74:75], v[30:31]
	v_add_f64_e32 v[54:55], v[66:67], v[60:61]
	;; [unrolled: 1-line block ×3, first 2 shown]
	v_add_f64_e64 v[30:31], v[74:75], -v[30:31]
	v_add_f64_e64 v[60:61], v[66:67], -v[60:61]
	v_add_f64_e32 v[99:100], v[14:15], v[22:23]
	v_add_f64_e64 v[101:102], v[48:49], -v[34:35]
	v_add_f64_e32 v[34:35], v[34:35], v[48:49]
	v_add_f64_e32 v[48:49], v[78:79], v[64:65]
	v_add_f64_e64 v[22:23], v[22:23], -v[14:15]
	v_add_f64_e64 v[117:118], v[78:79], -v[64:65]
	ds_load_2addr_b64 v[13:16], v137 offset1:56
	v_add_f64_e32 v[62:63], v[40:41], v[24:25]
	v_add_f64_e32 v[66:67], v[80:81], v[68:69]
	v_add_f64_e64 v[74:75], v[50:51], -v[36:37]
	v_add_f64_e64 v[24:25], v[24:25], -v[40:41]
	v_add_f64_e32 v[40:41], v[84:85], v[82:83]
	v_add_f64_e32 v[36:37], v[36:37], v[50:51]
	v_add_f64_e64 v[50:51], v[76:77], -v[38:39]
	v_add_f64_e64 v[38:39], v[38:39], -v[86:87]
	v_add_f64_e64 v[76:77], v[86:87], -v[76:77]
	v_add_f64_e32 v[105:106], v[20:21], v[26:27]
	v_add_f64_e64 v[103:104], v[84:85], -v[82:83]
	v_add_f64_e32 v[113:114], v[70:71], v[32:33]
	v_add_f64_e64 v[82:83], v[82:83], -v[88:89]
	;; [unrolled: 2-line block ×3, first 2 shown]
	v_add_f64_e64 v[52:53], v[52:53], -v[10:11]
	v_add_f64_e64 v[121:122], v[28:29], -v[58:59]
	;; [unrolled: 1-line block ×8, first 2 shown]
	global_wb scope:SCOPE_SE
	s_wait_dscnt 0x0
	s_barrier_signal -1
	s_barrier_wait -1
	v_add_f64_e32 v[115:116], v[90:91], v[54:55]
	v_add_f64_e32 v[86:87], v[86:87], v[97:98]
	global_inv scope:SCOPE_SE
	v_add_f64_e64 v[125:126], v[30:31], -v[60:61]
	v_add_f64_e64 v[64:65], v[64:65], -v[99:100]
	;; [unrolled: 1-line block ×4, first 2 shown]
	v_add_f64_e32 v[48:49], v[99:100], v[48:49]
	v_add_f64_e32 v[132:133], v[22:23], v[42:43]
	v_add_f64_e64 v[134:135], v[22:23], -v[42:43]
	v_add_f64_e64 v[42:43], v[42:43], -v[56:57]
	;; [unrolled: 1-line block ×3, first 2 shown]
	v_add_f64_e32 v[66:67], v[62:63], v[66:67]
	v_add_f64_e64 v[123:124], v[74:75], -v[30:31]
	v_add_f64_e64 v[62:63], v[62:63], -v[80:81]
	v_add_f64_e32 v[139:140], v[24:25], v[44:45]
	v_add_f64_e32 v[40:41], v[88:89], v[40:41]
	v_add_f64_e64 v[32:33], v[32:33], -v[34:35]
	v_add_f64_e64 v[70:71], v[34:35], -v[70:71]
	v_add_f64_e32 v[28:29], v[101:102], v[28:29]
	v_add_f64_e64 v[68:69], v[80:81], -v[68:69]
	v_add_f64_e64 v[80:81], v[90:91], -v[54:55]
	;; [unrolled: 3-line block ×3, first 2 shown]
	v_add_f64_e64 v[88:89], v[24:25], -v[44:45]
	v_mul_f64_e32 v[38:39], s[12:13], v[38:39]
	v_mul_f64_e32 v[141:142], s[18:19], v[76:77]
	v_add_f64_e32 v[30:31], v[74:75], v[30:31]
	v_add_f64_e64 v[44:45], v[44:45], -v[72:73]
	v_mul_f64_e32 v[111:112], s[14:15], v[111:112]
	s_wait_alu 0xfffe
	v_mul_f64_e32 v[113:114], s[0:1], v[52:53]
	v_add_f64_e64 v[101:102], v[58:59], -v[101:102]
	v_add_f64_e32 v[2:3], v[105:106], v[2:3]
	v_mul_f64_e32 v[105:106], s[0:1], v[121:122]
	v_add_f64_e64 v[74:75], v[60:61], -v[74:75]
	v_add_f64_e32 v[10:11], v[107:108], v[10:11]
	v_add_f64_e32 v[36:37], v[36:37], v[115:116]
	;; [unrolled: 1-line block ×3, first 2 shown]
	v_add_f64_e64 v[22:23], v[56:57], -v[22:23]
	v_mul_f64_e32 v[143:144], s[0:1], v[125:126]
	v_mul_f64_e32 v[82:83], s[12:13], v[82:83]
	;; [unrolled: 1-line block ×5, first 2 shown]
	v_add_f64_e32 v[6:7], v[6:7], v[48:49]
	v_add_f64_e64 v[24:25], v[72:73], -v[24:25]
	v_mul_f64_e32 v[109:110], s[14:15], v[109:110]
	v_mul_f64_e32 v[147:148], s[0:1], v[26:27]
	;; [unrolled: 1-line block ×3, first 2 shown]
	v_add_f64_e32 v[0:1], v[0:1], v[66:67]
	v_mul_f64_e32 v[107:108], s[14:15], v[123:124]
	v_mul_f64_e32 v[145:146], s[18:19], v[62:63]
	;; [unrolled: 1-line block ×3, first 2 shown]
	v_add_f64_e32 v[56:57], v[132:133], v[56:57]
	v_mul_f64_e32 v[132:133], s[14:15], v[134:135]
	v_mul_f64_e32 v[134:135], s[0:1], v[42:43]
	v_add_f64_e32 v[72:73], v[139:140], v[72:73]
	v_add_f64_e32 v[139:140], v[13:14], v[40:41]
	v_mul_f64_e32 v[32:33], s[12:13], v[32:33]
	v_add_f64_e32 v[149:150], v[15:16], v[34:35]
	v_add_f64_e32 v[28:29], v[28:29], v[58:59]
	v_mul_f64_e32 v[58:59], s[18:19], v[70:71]
	v_mul_f64_e32 v[54:55], s[12:13], v[54:55]
	;; [unrolled: 1-line block ×3, first 2 shown]
	v_fma_f64 v[141:142], v[50:51], s[10:11], -v[141:142]
	v_fma_f64 v[15:16], v[50:51], s[16:17], -v[38:39]
	v_add_f64_e32 v[30:31], v[30:31], v[60:61]
	v_mul_f64_e32 v[60:61], s[18:19], v[90:91]
	v_mul_f64_e32 v[88:89], s[0:1], v[44:45]
	v_fma_f64 v[76:77], v[76:77], s[18:19], v[38:39]
	v_fma_f64 v[38:39], v[46:47], s[22:23], v[111:112]
	v_fma_f64 v[46:47], v[46:47], s[24:25], -v[113:114]
	v_add_f64_e32 v[50:51], v[8:9], v[36:37]
	v_fma_f64 v[8:9], v[52:53], s[0:1], -v[111:112]
	v_fma_f64 v[52:53], v[86:87], s[4:5], v[4:5]
	v_fma_f64 v[84:85], v[84:85], s[18:19], v[82:83]
	;; [unrolled: 1-line block ×4, first 2 shown]
	v_fma_f64 v[86:87], v[117:118], s[10:11], -v[115:116]
	v_fma_f64 v[48:49], v[48:49], s[4:5], v[6:7]
	v_fma_f64 v[97:98], v[121:122], s[0:1], -v[97:98]
	v_fma_f64 v[101:102], v[101:102], s[24:25], -v[105:106]
	;; [unrolled: 1-line block ×3, first 2 shown]
	v_fma_f64 v[62:63], v[62:63], s[18:19], v[99:100]
	v_fma_f64 v[66:67], v[66:67], s[4:5], v[0:1]
	;; [unrolled: 1-line block ×3, first 2 shown]
	v_fma_f64 v[107:108], v[125:126], s[0:1], -v[107:108]
	v_fma_f64 v[74:75], v[74:75], s[24:25], -v[143:144]
	v_fma_f64 v[99:100], v[68:69], s[16:17], -v[99:100]
	v_fma_f64 v[68:69], v[68:69], s[10:11], -v[145:146]
	v_fma_f64 v[113:114], v[103:104], s[10:11], -v[123:124]
	v_fma_f64 v[82:83], v[103:104], s[16:17], -v[82:83]
	v_fma_f64 v[103:104], v[20:21], s[22:23], v[109:110]
	v_fma_f64 v[26:27], v[26:27], s[0:1], -v[109:110]
	v_fma_f64 v[20:21], v[20:21], s[24:25], -v[147:148]
	v_fma_f64 v[109:110], v[22:23], s[22:23], v[132:133]
	v_fma_f64 v[42:43], v[42:43], s[0:1], -v[132:133]
	v_fma_f64 v[22:23], v[22:23], s[24:25], -v[134:135]
	v_fma_f64 v[40:41], v[40:41], s[4:5], v[139:140]
	v_fma_f64 v[70:71], v[70:71], s[18:19], v[32:33]
	;; [unrolled: 1-line block ×3, first 2 shown]
	v_fma_f64 v[58:59], v[119:120], s[10:11], -v[58:59]
	v_fma_f64 v[32:33], v[119:120], s[16:17], -v[32:33]
	v_fma_f64 v[90:91], v[90:91], s[18:19], v[54:55]
	v_fma_f64 v[115:116], v[24:25], s[22:23], v[13:14]
	v_fma_f64 v[60:61], v[80:81], s[10:11], -v[60:61]
	v_fma_f64 v[13:14], v[44:45], s[0:1], -v[13:14]
	;; [unrolled: 1-line block ×4, first 2 shown]
	v_fma_f64 v[36:37], v[36:37], s[4:5], v[50:51]
	v_fma_f64 v[38:39], v[10:11], s[20:21], v[38:39]
	;; [unrolled: 1-line block ×4, first 2 shown]
	v_add_f64_e32 v[46:47], v[76:77], v[52:53]
	v_add_f64_e32 v[15:16], v[15:16], v[52:53]
	;; [unrolled: 1-line block ×3, first 2 shown]
	v_fma_f64 v[54:55], v[28:29], s[20:21], v[111:112]
	v_add_f64_e32 v[78:79], v[78:79], v[48:49]
	v_fma_f64 v[76:77], v[28:29], s[20:21], v[97:98]
	v_fma_f64 v[28:29], v[28:29], s[20:21], v[101:102]
	v_add_f64_e32 v[64:65], v[64:65], v[48:49]
	v_add_f64_e32 v[48:49], v[86:87], v[48:49]
	;; [unrolled: 1-line block ×3, first 2 shown]
	v_fma_f64 v[80:81], v[30:31], s[20:21], v[105:106]
	v_fma_f64 v[86:87], v[30:31], s[20:21], v[107:108]
	v_fma_f64 v[30:31], v[30:31], s[20:21], v[74:75]
	v_add_f64_e32 v[74:75], v[99:100], v[66:67]
	v_add_f64_e32 v[66:67], v[68:69], v[66:67]
	v_mul_u32_u24_e32 v88, 0x540, v17
	v_lshlrev_b32_e32 v97, 3, v18
	v_lshlrev_b32_e32 v98, 3, v19
	v_fma_f64 v[17:18], v[2:3], s[20:21], v[103:104]
	v_fma_f64 v[26:27], v[2:3], s[20:21], v[26:27]
	v_fma_f64 v[2:3], v[2:3], s[20:21], v[20:21]
	v_fma_f64 v[19:20], v[56:57], s[20:21], v[109:110]
	v_fma_f64 v[42:43], v[56:57], s[20:21], v[42:43]
	v_fma_f64 v[21:22], v[56:57], s[20:21], v[22:23]
	v_add_f64_e32 v[56:57], v[84:85], v[40:41]
	v_add_f64_e32 v[68:69], v[82:83], v[40:41]
	;; [unrolled: 1-line block ×6, first 2 shown]
	v_fma_f64 v[82:83], v[72:73], s[20:21], v[115:116]
	v_lshlrev_b32_e32 v99, 3, v12
	v_fma_f64 v[12:13], v[72:73], s[20:21], v[13:14]
	v_fma_f64 v[23:24], v[72:73], s[20:21], v[24:25]
	v_add_f64_e32 v[58:59], v[90:91], v[36:37]
	v_add_f64_e32 v[60:61], v[60:61], v[36:37]
	;; [unrolled: 1-line block ×3, first 2 shown]
	v_mul_u32_u24_e32 v89, 0x540, v127
	v_add_f64_e32 v[44:45], v[38:39], v[46:47]
	v_add_f64_e32 v[72:73], v[10:11], v[15:16]
	v_add_f64_e64 v[84:85], v[52:53], -v[8:9]
	v_add_f64_e32 v[8:9], v[8:9], v[52:53]
	v_add_f64_e64 v[10:11], v[15:16], -v[10:11]
	v_add_f64_e64 v[14:15], v[46:47], -v[38:39]
	v_add_f64_e32 v[38:39], v[54:55], v[78:79]
	v_add_f64_e32 v[46:47], v[28:29], v[64:65]
	v_add_f64_e64 v[52:53], v[48:49], -v[76:77]
	v_add_f64_e32 v[48:49], v[76:77], v[48:49]
	v_add_f64_e64 v[28:29], v[64:65], -v[28:29]
	v_add_f64_e64 v[54:55], v[78:79], -v[54:55]
	;; [unrolled: 6-line block ×3, first 2 shown]
	v_add3_u32 v109, 0, v153, v97
	v_add3_u32 v110, 0, v88, v98
	;; [unrolled: 1-line block ×3, first 2 shown]
	ds_store_2addr_b64 v109, v[4:5], v[44:45] offset1:24
	ds_store_2addr_b64 v109, v[72:73], v[84:85] offset0:48 offset1:72
	ds_store_2addr_b64 v109, v[8:9], v[10:11] offset0:96 offset1:120
	ds_store_b64 v109, v[14:15] offset:1152
	ds_store_2addr_b64 v110, v[6:7], v[38:39] offset1:24
	ds_store_2addr_b64 v110, v[46:47], v[52:53] offset0:48 offset1:72
	ds_store_2addr_b64 v110, v[48:49], v[28:29] offset0:96 offset1:120
	ds_store_b64 v110, v[54:55] offset:1152
	;; [unrolled: 4-line block ×3, first 2 shown]
	v_add_f64_e64 v[74:75], v[56:57], -v[17:18]
	v_add_f64_e64 v[80:81], v[68:69], -v[2:3]
	v_add_f64_e32 v[86:87], v[26:27], v[40:41]
	v_add_f64_e64 v[40:41], v[40:41], -v[26:27]
	v_add_f64_e32 v[68:69], v[2:3], v[68:69]
	v_add_f64_e32 v[56:57], v[17:18], v[56:57]
	v_add_f64_e64 v[88:89], v[70:71], -v[19:20]
	v_add_f64_e64 v[90:91], v[32:33], -v[21:22]
	v_add_f64_e32 v[97:98], v[42:43], v[34:35]
	v_add_f64_e64 v[42:43], v[34:35], -v[42:43]
	v_add_f64_e32 v[99:100], v[21:22], v[32:33]
	v_add_f64_e32 v[70:71], v[19:20], v[70:71]
	v_add_f64_e64 v[101:102], v[58:59], -v[82:83]
	v_add_f64_e64 v[103:104], v[36:37], -v[23:24]
	v_add_f64_e32 v[105:106], v[12:13], v[60:61]
	v_add_f64_e64 v[60:61], v[60:61], -v[12:13]
	v_add_f64_e32 v[107:108], v[23:24], v[36:37]
	global_wb scope:SCOPE_SE
	s_wait_dscnt 0x0
	s_barrier_signal -1
	s_barrier_wait -1
	global_inv scope:SCOPE_SE
	ds_load_2addr_b64 v[0:3], v137 offset1:56
	ds_load_2addr_b64 v[4:7], v137 offset0:112 offset1:168
	ds_load_2addr_b64 v[20:23], v93 offset0:80 offset1:136
	;; [unrolled: 1-line block ×9, first 2 shown]
	ds_load_b64 v[118:119], v137 offset:8960
	v_add_f64_e32 v[58:59], v[82:83], v[58:59]
	global_wb scope:SCOPE_SE
	s_wait_dscnt 0x0
	s_barrier_signal -1
	s_barrier_wait -1
	global_inv scope:SCOPE_SE
	ds_store_2addr_b64 v109, v[139:140], v[74:75] offset1:24
	ds_store_2addr_b64 v109, v[80:81], v[86:87] offset0:48 offset1:72
	ds_store_2addr_b64 v109, v[40:41], v[68:69] offset0:96 offset1:120
	ds_store_b64 v109, v[56:57] offset:1152
	ds_store_2addr_b64 v110, v[149:150], v[88:89] offset1:24
	ds_store_2addr_b64 v110, v[90:91], v[97:98] offset0:48 offset1:72
	ds_store_2addr_b64 v110, v[42:43], v[99:100] offset0:96 offset1:120
	ds_store_b64 v110, v[70:71] offset:1152
	;; [unrolled: 4-line block ×3, first 2 shown]
	global_wb scope:SCOPE_SE
	s_wait_dscnt 0x0
	s_barrier_signal -1
	s_barrier_wait -1
	global_inv scope:SCOPE_SE
	s_and_saveexec_b32 s26, vcc_lo
	s_cbranch_execz .LBB0_37
; %bb.36:
	v_mul_u32_u24_e32 v40, 6, v138
	v_mad_u32_u24 v116, v138, 6, 0xfffffeb0
	v_add_nc_u32_e32 v163, 0x70, v136
	v_add_nc_u32_e32 v162, 56, v136
	v_lshrrev_b32_e32 v144, 3, v136
	v_dual_mov_b32 v117, 0 :: v_dual_lshlrev_b32 v42, 4, v40
	v_mul_u32_u24_e32 v40, 6, v136
	v_lshrrev_b32_e32 v126, 3, v163
	v_lshrrev_b32_e32 v125, 3, v162
	global_load_b128 v[112:115], v42, s[8:9] offset:2736
	v_add_nc_u32_e32 v124, 0x400, v137
	v_lshlrev_b32_e32 v43, 4, v40
	v_lshlrev_b64_e32 v[40:41], 4, v[116:117]
	v_mul_hi_u32 v143, 0x18618619, v126
	s_clause 0x7
	global_load_b128 v[108:111], v43, s[8:9] offset:2720
	global_load_b128 v[104:107], v42, s[8:9] offset:2656
	;; [unrolled: 1-line block ×8, first 2 shown]
	v_add_co_u32 v44, vcc_lo, s8, v40
	s_wait_alu 0xfffd
	v_add_co_ci_u32_e32 v45, vcc_lo, s9, v41, vcc_lo
	s_clause 0x8
	global_load_b128 v[84:87], v42, s[8:9] offset:2688
	global_load_b128 v[60:63], v[44:45], off offset:2656
	global_load_b128 v[64:67], v[44:45], off offset:2736
	global_load_b128 v[48:51], v43, s[8:9] offset:2704
	global_load_b128 v[68:71], v[44:45], off offset:2672
	global_load_b128 v[72:75], v[44:45], off offset:2720
	;; [unrolled: 3-line block ×3, first 2 shown]
	v_add_nc_u32_e32 v116, 0x1800, v137
	v_mul_hi_u32 v142, 0x18618619, v125
	ds_load_b64 v[122:123], v137 offset:8960
	v_add_nc_u32_e32 v135, 0x1c00, v137
	v_mul_lo_u32 v150, s3, v130
	v_mul_lo_u32 v151, s2, v131
	v_mad_co_u64_u32 v[120:121], null, s2, v130, 0
	ds_load_2addr_b64 v[56:59], v137 offset0:112 offset1:168
	v_lshlrev_b64_e32 v[125:126], 4, v[128:129]
	ds_load_2addr_b64 v[127:130], v116 offset0:16 offset1:72
	ds_load_2addr_b64 v[131:134], v124 offset0:96 offset1:152
	;; [unrolled: 1-line block ×3, first 2 shown]
	v_mul_hi_u32 v124, 0x18618619, v144
	v_lshrrev_b32_e32 v168, 1, v143
	v_add_nc_u32_e32 v158, 0x1000, v137
	v_add_nc_u32_e32 v154, 0x800, v137
	v_lshrrev_b32_e32 v135, 1, v142
	v_add3_u32 v121, v121, v151, v150
	v_mul_lo_u32 v165, 0xa8, v168
	ds_load_2addr_b64 v[142:145], v158 offset0:48 offset1:104
	ds_load_2addr_b64 v[146:149], v154 offset0:192 offset1:248
	;; [unrolled: 1-line block ×5, first 2 shown]
	v_mul_lo_u32 v164, 0xa8, v135
	v_lshrrev_b32_e32 v124, 1, v124
	v_lshlrev_b64_e32 v[120:121], 4, v[120:121]
	s_delay_alu instid0(VALU_DEP_2) | instskip(SKIP_2) | instid1(VALU_DEP_1)
	v_mul_lo_u32 v170, 0xa8, v124
	v_sub_nc_u32_e32 v124, v163, v165
	v_sub_nc_u32_e32 v116, v162, v164
	v_mad_co_u64_u32 v[166:167], null, 0x498, v135, v[116:117]
	v_mov_b32_e32 v167, v117
	v_sub_nc_u32_e32 v178, v136, v170
	s_delay_alu instid0(VALU_DEP_3) | instskip(NEXT) | instid1(VALU_DEP_1)
	v_add_nc_u32_e32 v116, 0xa8, v166
	v_lshlrev_b64_e32 v[135:136], 4, v[116:117]
	v_add_nc_u32_e32 v116, 0x150, v166
	s_delay_alu instid0(VALU_DEP_1)
	v_lshlrev_b64_e32 v[174:175], 4, v[116:117]
	v_add_nc_u32_e32 v116, 0x1f8, v166
	s_wait_loadcnt_dscnt 0x1109
	v_mul_f64_e32 v[162:163], v[114:115], v[122:123]
	v_mul_f64_e32 v[164:165], v[112:113], v[122:123]
	v_add_co_u32 v122, vcc_lo, s6, v120
	s_wait_alu 0xfffd
	v_add_co_ci_u32_e32 v123, vcc_lo, s7, v121, vcc_lo
	v_mad_co_u64_u32 v[120:121], null, 0x498, v168, v[124:125]
	s_wait_loadcnt_dscnt 0x1007
	v_mul_f64_e32 v[168:169], v[110:111], v[129:130]
	v_mul_f64_e32 v[129:130], v[108:109], v[129:130]
	s_wait_loadcnt_dscnt 0xf06
	v_mul_f64_e32 v[170:171], v[106:107], v[133:134]
	v_mul_f64_e32 v[133:134], v[104:105], v[133:134]
	;; [unrolled: 3-line block ×4, first 2 shown]
	v_mov_b32_e32 v121, v117
	v_add_co_u32 v125, vcc_lo, v122, v125
	s_wait_alu 0xfffd
	v_add_co_ci_u32_e32 v126, vcc_lo, v123, v126, vcc_lo
	v_lshlrev_b64_e32 v[123:124], 4, v[166:167]
	v_lshlrev_b64_e32 v[121:122], 4, v[120:121]
	s_delay_alu instid0(VALU_DEP_2) | instskip(SKIP_1) | instid1(VALU_DEP_3)
	v_add_co_u32 v123, vcc_lo, v125, v123
	s_wait_alu 0xfffd
	v_add_co_ci_u32_e32 v124, vcc_lo, v126, v124, vcc_lo
	s_delay_alu instid0(VALU_DEP_3)
	v_add_co_u32 v121, vcc_lo, v125, v121
	s_wait_alu 0xfffd
	v_add_co_ci_u32_e32 v122, vcc_lo, v126, v122, vcc_lo
	v_fma_f64 v[162:163], v[118:119], v[112:113], -v[162:163]
	v_fma_f64 v[114:115], v[118:119], v[114:115], v[164:165]
	s_wait_loadcnt 0xc
	v_mul_f64_e32 v[118:119], v[94:95], v[58:59]
	v_mul_f64_e32 v[164:165], v[92:93], v[58:59]
	v_add_co_u32 v58, vcc_lo, v125, v135
	s_wait_alu 0xfffd
	v_add_co_ci_u32_e32 v59, vcc_lo, v126, v136, vcc_lo
	s_wait_loadcnt_dscnt 0xb01
	v_mul_f64_e32 v[135:136], v[90:91], v[154:155]
	v_fma_f64 v[108:109], v[38:39], v[108:109], -v[168:169]
	v_fma_f64 v[38:39], v[38:39], v[110:111], v[129:130]
	v_mul_f64_e32 v[110:111], v[88:89], v[154:155]
	s_wait_loadcnt 0x9
	v_mul_f64_e32 v[154:155], v[80:81], v[146:147]
	v_mul_f64_e32 v[129:130], v[78:79], v[127:128]
	;; [unrolled: 1-line block ×3, first 2 shown]
	v_fma_f64 v[104:105], v[34:35], v[104:105], -v[170:171]
	v_fma_f64 v[34:35], v[34:35], v[106:107], v[133:134]
	v_mul_f64_e32 v[106:107], v[82:83], v[146:147]
	s_wait_loadcnt 0x8
	v_mul_f64_e32 v[133:134], v[86:87], v[144:145]
	v_fma_f64 v[100:101], v[24:25], v[100:101], -v[172:173]
	v_fma_f64 v[24:25], v[24:25], v[102:103], v[138:139]
	v_mul_f64_e32 v[102:103], v[84:85], v[144:145]
	s_wait_loadcnt 0x7
	v_mul_f64_e32 v[138:139], v[60:61], v[131:132]
	v_mul_f64_e32 v[131:132], v[62:63], v[131:132]
	s_wait_loadcnt 0x6
	v_mul_f64_e32 v[144:145], v[66:67], v[140:141]
	v_mul_f64_e32 v[140:141], v[64:65], v[140:141]
	v_fma_f64 v[96:97], v[30:31], v[96:97], -v[176:177]
	v_fma_f64 v[30:31], v[30:31], v[98:99], v[152:153]
	s_wait_loadcnt 0x4
	v_mul_f64_e32 v[98:99], v[70:71], v[156:157]
	s_wait_loadcnt 0x3
	v_mul_f64_e32 v[152:153], v[72:73], v[150:151]
	v_mul_f64_e32 v[156:157], v[68:69], v[156:157]
	;; [unrolled: 1-line block ×3, first 2 shown]
	s_wait_dscnt 0x0
	v_mul_f64_e32 v[146:147], v[50:51], v[158:159]
	s_wait_loadcnt 0x2
	v_mul_f64_e32 v[167:168], v[54:55], v[148:149]
	v_mul_f64_e32 v[148:149], v[52:53], v[148:149]
	;; [unrolled: 1-line block ×3, first 2 shown]
	v_lshlrev_b64_e32 v[169:170], 4, v[116:117]
	v_add_nc_u32_e32 v116, 0x2a0, v166
	v_add_co_u32 v112, vcc_lo, v125, v174
	v_fma_f64 v[118:119], v[6:7], v[92:93], -v[118:119]
	v_fma_f64 v[164:165], v[6:7], v[94:95], v[164:165]
	ds_load_2addr_b64 v[92:95], v137 offset1:56
	v_lshlrev_b32_e32 v6, 4, v178
	s_wait_alu 0xfffd
	v_add_co_ci_u32_e32 v113, vcc_lo, v126, v175, vcc_lo
	v_fma_f64 v[88:89], v[20:21], v[88:89], -v[135:136]
	s_wait_loadcnt 0x0
	v_mul_f64_e32 v[135:136], v[46:47], v[142:143]
	v_mul_f64_e32 v[142:143], v[44:45], v[142:143]
	v_fma_f64 v[90:91], v[20:21], v[90:91], v[110:111]
	v_fma_f64 v[82:83], v[16:17], v[82:83], v[154:155]
	v_mul_f64_e32 v[110:111], v[42:43], v[160:161]
	v_mul_f64_e32 v[160:161], v[40:41], v[160:161]
	v_fma_f64 v[76:77], v[36:37], v[76:77], -v[129:130]
	v_fma_f64 v[36:37], v[36:37], v[78:79], v[127:128]
	v_fma_f64 v[16:17], v[16:17], v[80:81], -v[106:107]
	v_fma_f64 v[78:79], v[14:15], v[84:85], -v[133:134]
	v_add_co_u32 v6, vcc_lo, v125, v6
	v_fma_f64 v[80:81], v[14:15], v[86:87], v[102:103]
	v_fma_f64 v[62:63], v[32:33], v[62:63], v[138:139]
	v_fma_f64 v[32:33], v[32:33], v[60:61], -v[131:132]
	v_add_f64_e32 v[60:61], v[34:35], v[114:115]
	v_fma_f64 v[66:67], v[26:27], v[66:67], v[140:141]
	v_fma_f64 v[26:27], v[26:27], v[64:65], -v[144:145]
	v_add_f64_e64 v[102:103], v[104:105], -v[162:163]
	v_add_f64_e64 v[34:35], v[34:35], -v[114:115]
	v_fma_f64 v[74:75], v[28:29], v[74:75], v[152:153]
	v_fma_f64 v[70:71], v[22:23], v[70:71], v[156:157]
	v_fma_f64 v[22:23], v[22:23], v[68:69], -v[98:99]
	v_fma_f64 v[28:29], v[28:29], v[72:73], -v[150:151]
	;; [unrolled: 1-line block ×4, first 2 shown]
	v_fma_f64 v[18:19], v[18:19], v[54:55], v[148:149]
	v_fma_f64 v[50:51], v[8:9], v[50:51], v[158:159]
	v_lshlrev_b64_e32 v[154:155], 4, v[116:117]
	s_wait_alu 0xfffd
	v_add_co_ci_u32_e32 v7, vcc_lo, 0, v126, vcc_lo
	v_add_f64_e32 v[84:85], v[118:119], v[100:101]
	v_add_f64_e32 v[68:69], v[164:165], v[24:25]
	v_add_co_u32 v20, vcc_lo, v125, v169
	s_wait_alu 0xfffd
	v_add_co_ci_u32_e32 v21, vcc_lo, v126, v170, vcc_lo
	v_add_f64_e32 v[86:87], v[88:89], v[108:109]
	v_fma_f64 v[44:45], v[12:13], v[44:45], -v[135:136]
	v_fma_f64 v[12:13], v[12:13], v[46:47], v[142:143]
	v_add_f64_e32 v[72:73], v[90:91], v[38:39]
	v_add_f64_e32 v[64:65], v[82:83], v[30:31]
	v_fma_f64 v[40:41], v[10:11], v[40:41], -v[110:111]
	v_fma_f64 v[42:43], v[10:11], v[42:43], v[160:161]
	v_add_f64_e32 v[46:47], v[104:105], v[162:163]
	v_add_f64_e64 v[30:31], v[82:83], -v[30:31]
	v_add_f64_e32 v[98:99], v[16:17], v[96:97]
	v_add_f64_e64 v[104:105], v[76:77], -v[78:79]
	v_add_f64_e64 v[16:17], v[16:17], -v[96:97]
	v_add_f64_e32 v[76:77], v[76:77], v[78:79]
	v_add_f64_e32 v[96:97], v[36:37], v[80:81]
	v_add_f64_e64 v[36:37], v[36:37], -v[80:81]
	v_add_f64_e64 v[82:83], v[118:119], -v[100:101]
	v_add_f64_e64 v[88:89], v[88:89], -v[108:109]
	v_add_f64_e32 v[106:107], v[62:63], v[66:67]
	v_add_f64_e32 v[78:79], v[32:33], v[26:27]
	v_add_f64_e64 v[38:39], v[90:91], -v[38:39]
	v_add_f64_e64 v[90:91], v[164:165], -v[24:25]
	;; [unrolled: 1-line block ×3, first 2 shown]
	v_add_f64_e32 v[110:111], v[70:71], v[74:75]
	v_add_co_u32 v14, vcc_lo, v125, v154
	v_add_f64_e32 v[80:81], v[22:23], v[28:29]
	v_add_f64_e64 v[100:101], v[48:49], -v[52:53]
	v_add_f64_e32 v[48:49], v[48:49], v[52:53]
	v_add_f64_e64 v[24:25], v[50:51], -v[18:19]
	;; [unrolled: 2-line block ×3, first 2 shown]
	s_wait_alu 0xfffd
	v_add_co_ci_u32_e32 v15, vcc_lo, v126, v155, vcc_lo
	v_add_nc_u32_e32 v116, 0x348, v166
	v_add_f64_e32 v[114:115], v[84:85], v[86:87]
	s_delay_alu instid0(VALU_DEP_2)
	v_lshlrev_b64_e32 v[169:170], 4, v[116:117]
	v_add_nc_u32_e32 v116, 0x3f0, v166
	v_add_f64_e32 v[52:53], v[68:69], v[72:73]
	v_add_f64_e32 v[50:51], v[60:61], v[64:65]
	v_add_f64_e64 v[32:33], v[40:41], -v[44:45]
	v_add_f64_e32 v[28:29], v[42:43], v[12:13]
	v_add_f64_e32 v[40:41], v[40:41], v[44:45]
	v_add_f64_e64 v[44:45], v[62:63], -v[66:67]
	v_add_f64_e64 v[12:13], v[42:43], -v[12:13]
	;; [unrolled: 1-line block ×3, first 2 shown]
	v_add_f64_e32 v[62:63], v[46:47], v[98:99]
	v_add_f64_e64 v[66:67], v[102:103], -v[104:105]
	v_add_f64_e64 v[70:71], v[104:105], -v[16:17]
	v_add_f64_e32 v[74:75], v[104:105], v[16:17]
	v_add_f64_e64 v[104:105], v[60:61], -v[96:97]
	v_add_f64_e64 v[118:119], v[96:97], -v[64:65]
	;; [unrolled: 1-line block ×7, first 2 shown]
	v_add_f64_e32 v[127:128], v[106:107], v[110:111]
	v_add_f64_e64 v[98:99], v[38:39], -v[90:91]
	v_add_f64_e64 v[139:140], v[88:89], -v[82:83]
	v_add_f64_e32 v[137:138], v[78:79], v[80:81]
	v_add_f64_e64 v[141:142], v[100:101], -v[88:89]
	v_add_f64_e64 v[145:146], v[48:49], -v[86:87]
	;; [unrolled: 1-line block ×4, first 2 shown]
	v_add_f64_e32 v[88:89], v[100:101], v[88:89]
	v_add_f64_e64 v[100:101], v[68:69], -v[18:19]
	v_add_f64_e64 v[16:17], v[36:37], -v[30:31]
	v_add_f64_e32 v[38:39], v[24:25], v[38:39]
	v_add_f64_e64 v[68:69], v[72:73], -v[68:69]
	v_add_f64_e64 v[153:154], v[22:23], -v[26:27]
	;; [unrolled: 1-line block ×3, first 2 shown]
	v_add_f64_e32 v[36:37], v[36:37], v[30:31]
	v_add_f64_e32 v[114:115], v[48:49], v[114:115]
	v_add_f64_e64 v[48:49], v[84:85], -v[48:49]
	v_add_f64_e64 v[30:31], v[30:31], -v[34:35]
	v_add_f64_e32 v[52:53], v[18:19], v[52:53]
	v_add_f64_e32 v[50:51], v[96:97], v[50:51]
	v_add_f64_e64 v[96:97], v[18:19], -v[72:73]
	v_add_f64_e64 v[72:73], v[86:87], -v[84:85]
	v_add_f64_e64 v[84:85], v[26:27], -v[32:33]
	v_add_f64_e64 v[86:87], v[32:33], -v[22:23]
	v_add_f64_e32 v[32:33], v[32:33], v[22:23]
	v_add_f64_e64 v[149:150], v[28:29], -v[110:111]
	v_add_f64_e64 v[151:152], v[40:41], -v[80:81]
	v_add_f64_e64 v[157:158], v[106:107], -v[28:29]
	v_add_f64_e64 v[159:160], v[12:13], -v[42:43]
	v_add_f64_e32 v[62:63], v[76:77], v[62:63]
	v_add_f64_e64 v[76:77], v[78:79], -v[40:41]
	v_add_f64_e32 v[155:156], v[12:13], v[42:43]
	v_add_f64_e64 v[42:43], v[42:43], -v[44:45]
	v_add_f64_e64 v[147:148], v[90:91], -v[24:25]
	v_mul_f64_e32 v[70:71], s[14:15], v[70:71]
	v_add_f64_e64 v[78:79], v[80:81], -v[78:79]
	v_mul_f64_e32 v[80:81], s[18:19], v[118:119]
	v_add_f64_e32 v[28:29], v[28:29], v[127:128]
	v_mul_f64_e32 v[127:128], s[0:1], v[133:134]
	v_mul_f64_e32 v[118:119], s[12:13], v[104:105]
	v_add_f64_e32 v[40:41], v[40:41], v[137:138]
	v_mul_f64_e32 v[137:138], s[14:15], v[141:142]
	v_mul_f64_e32 v[141:142], s[0:1], v[98:99]
	v_mul_f64_e32 v[64:65], s[14:15], v[64:65]
	v_add_f64_e64 v[106:107], v[110:111], -v[106:107]
	v_mul_f64_e32 v[110:111], s[0:1], v[139:140]
	v_add_f64_e64 v[12:13], v[44:45], -v[12:13]
	v_mul_f64_e32 v[131:132], s[18:19], v[131:132]
	v_add_f64_e32 v[74:75], v[102:103], v[74:75]
	v_mul_f64_e32 v[102:103], s[14:15], v[16:17]
	v_add_f64_e32 v[38:39], v[90:91], v[38:39]
	v_lshlrev_b64_e32 v[54:55], 4, v[116:117]
	v_add_f64_e32 v[34:35], v[34:35], v[36:37]
	v_add_f64_e32 v[22:23], v[0:1], v[114:115]
	v_mul_f64_e32 v[0:1], s[12:13], v[100:101]
	v_add_f64_e32 v[36:37], v[82:83], v[88:89]
	s_wait_dscnt 0x0
	v_add_f64_e32 v[24:25], v[92:93], v[52:53]
	v_add_f64_e32 v[18:19], v[56:57], v[50:51]
	v_mul_f64_e32 v[56:57], s[18:19], v[96:97]
	v_mul_f64_e32 v[96:97], s[18:19], v[145:146]
	;; [unrolled: 1-line block ×4, first 2 shown]
	v_add_f64_e32 v[26:27], v[26:27], v[32:33]
	v_mul_f64_e32 v[32:33], s[18:19], v[149:150]
	v_mul_f64_e32 v[90:91], s[18:19], v[151:152]
	;; [unrolled: 1-line block ×4, first 2 shown]
	v_add_f64_e32 v[16:17], v[4:5], v[62:63]
	v_mul_f64_e32 v[82:83], s[12:13], v[129:130]
	v_add_f64_e32 v[44:45], v[44:45], v[155:156]
	v_mul_f64_e32 v[151:152], s[0:1], v[42:43]
	v_mul_f64_e32 v[155:156], s[12:13], v[76:77]
	;; [unrolled: 1-line block ×3, first 2 shown]
	v_add_nc_u32_e32 v116, 0xa8, v120
	v_fma_f64 v[104:105], v[104:105], s[12:13], v[80:81]
	v_add_f64_e32 v[4:5], v[94:95], v[28:29]
	v_mul_f64_e32 v[94:95], s[14:15], v[159:160]
	v_fma_f64 v[127:128], v[66:67], s[24:25], -v[127:128]
	v_add_f64_e32 v[2:3], v[2:3], v[40:41]
	v_fma_f64 v[66:67], v[66:67], s[22:23], v[70:71]
	v_fma_f64 v[70:71], v[133:134], s[0:1], -v[70:71]
	v_fma_f64 v[133:134], v[143:144], s[22:23], v[137:138]
	v_fma_f64 v[137:138], v[139:140], s[0:1], -v[137:138]
	v_fma_f64 v[118:119], v[60:61], s[16:17], -v[118:119]
	v_fma_f64 v[139:140], v[147:148], s[22:23], v[64:65]
	v_fma_f64 v[141:142], v[147:148], s[24:25], -v[141:142]
	v_fma_f64 v[64:65], v[98:99], s[0:1], -v[64:65]
	;; [unrolled: 1-line block ×4, first 2 shown]
	v_fma_f64 v[80:81], v[129:130], s[12:13], v[131:132]
	v_fma_f64 v[30:31], v[30:31], s[0:1], -v[102:103]
	v_add_co_u32 v8, vcc_lo, v125, v169
	v_fma_f64 v[0:1], v[68:69], s[16:17], -v[0:1]
	v_fma_f64 v[52:53], v[52:53], s[4:5], v[24:25]
	v_fma_f64 v[50:51], v[50:51], s[4:5], v[18:19]
	;; [unrolled: 1-line block ×5, first 2 shown]
	v_fma_f64 v[92:93], v[72:73], s[16:17], -v[92:93]
	v_fma_f64 v[56:57], v[68:69], s[10:11], -v[56:57]
	v_fma_f64 v[68:69], v[72:73], s[10:11], -v[96:97]
	v_fma_f64 v[72:73], v[135:136], s[22:23], v[102:103]
	v_fma_f64 v[96:97], v[84:85], s[22:23], v[86:87]
	;; [unrolled: 1-line block ×4, first 2 shown]
	v_fma_f64 v[84:85], v[84:85], s[24:25], -v[145:146]
	v_fma_f64 v[62:63], v[62:63], s[4:5], v[16:17]
	v_fma_f64 v[114:115], v[106:107], s[16:17], -v[149:150]
	v_fma_f64 v[32:33], v[106:107], s[10:11], -v[32:33]
	;; [unrolled: 1-line block ×5, first 2 shown]
	v_fma_f64 v[28:29], v[28:29], s[4:5], v[4:5]
	v_fma_f64 v[106:107], v[12:13], s[22:23], v[94:95]
	v_fma_f64 v[12:13], v[12:13], s[24:25], -v[151:152]
	v_fma_f64 v[40:41], v[40:41], s[4:5], v[2:3]
	v_fma_f64 v[42:43], v[42:43], s[0:1], -v[94:95]
	v_fma_f64 v[94:95], v[78:79], s[16:17], -v[155:156]
	v_fma_f64 v[78:79], v[78:79], s[10:11], -v[90:91]
	v_fma_f64 v[46:47], v[46:47], s[10:11], -v[131:132]
	v_lshlrev_b64_e32 v[10:11], 4, v[116:117]
	v_fma_f64 v[90:91], v[74:75], s[20:21], v[66:67]
	v_fma_f64 v[66:67], v[74:75], s[20:21], v[127:128]
	;; [unrolled: 1-line block ×7, first 2 shown]
	s_wait_alu 0xfffd
	v_add_co_ci_u32_e32 v9, vcc_lo, v126, v170, vcc_lo
	v_fma_f64 v[110:111], v[36:37], s[20:21], v[110:111]
	v_fma_f64 v[131:132], v[36:37], s[20:21], v[137:138]
	v_add_f64_e32 v[64:65], v[118:119], v[50:51]
	v_add_f64_e32 v[98:99], v[98:99], v[52:53]
	;; [unrolled: 1-line block ×6, first 2 shown]
	v_add_co_u32 v108, vcc_lo, v125, v54
	v_add_f64_e32 v[56:57], v[56:57], v[52:53]
	v_add_f64_e32 v[68:69], v[68:69], v[100:101]
	s_wait_alu 0xfffd
	v_add_co_ci_u32_e32 v109, vcc_lo, v126, v55, vcc_lo
	v_add_co_u32 v100, vcc_lo, v125, v10
	v_add_f64_e32 v[104:105], v[104:105], v[50:51]
	s_wait_alu 0xfffd
	v_add_co_ci_u32_e32 v101, vcc_lo, v126, v11, vcc_lo
	v_fma_f64 v[10:11], v[34:35], s[20:21], v[72:73]
	v_fma_f64 v[72:73], v[26:27], s[20:21], v[96:97]
	;; [unrolled: 1-line block ×3, first 2 shown]
	v_add_f64_e32 v[96:97], v[80:81], v[62:63]
	v_add_f64_e32 v[80:81], v[102:103], v[28:29]
	;; [unrolled: 1-line block ×3, first 2 shown]
	v_fma_f64 v[102:103], v[44:45], s[20:21], v[106:107]
	v_add_f64_e32 v[135:136], v[76:77], v[40:41]
	v_fma_f64 v[106:107], v[44:45], s[20:21], v[12:13]
	v_add_f64_e32 v[76:77], v[94:95], v[40:41]
	;; [unrolled: 2-line block ×6, first 2 shown]
	v_add_nc_u32_e32 v116, 0x150, v120
	v_add_f64_e32 v[28:29], v[66:67], v[64:65]
	v_add_f64_e64 v[40:41], v[64:65], -v[66:67]
	s_delay_alu instid0(VALU_DEP_3)
	v_lshlrev_b64_e32 v[54:55], 4, v[116:117]
	v_add_f64_e64 v[66:67], v[98:99], -v[74:75]
	v_add_f64_e32 v[64:65], v[127:128], v[118:119]
	v_add_f64_e64 v[46:47], v[60:61], -v[129:130]
	v_add_f64_e64 v[62:63], v[0:1], -v[110:111]
	v_add_f64_e32 v[60:61], v[129:130], v[60:61]
	v_add_co_u32 v145, vcc_lo, v125, v54
	s_wait_alu 0xfffd
	v_add_co_ci_u32_e32 v146, vcc_lo, v126, v55, vcc_lo
	v_add_f64_e64 v[52:53], v[56:57], -v[131:132]
	v_add_f64_e32 v[56:57], v[131:132], v[56:57]
	v_add_f64_e64 v[54:55], v[68:69], -v[38:39]
	v_add_f64_e32 v[50:51], v[38:39], v[68:69]
	v_add_f64_e32 v[48:49], v[110:111], v[0:1]
	;; [unrolled: 1-line block ×3, first 2 shown]
	v_add_f64_e64 v[42:43], v[118:119], -v[127:128]
	v_add_f64_e32 v[12:13], v[90:91], v[104:105]
	v_add_f64_e64 v[32:33], v[36:37], -v[70:71]
	v_add_f64_e32 v[36:37], v[70:71], v[36:37]
	;; [unrolled: 2-line block ×3, first 2 shown]
	v_add_f64_e64 v[90:91], v[92:93], -v[84:85]
	v_add_f64_e64 v[94:95], v[80:81], -v[72:73]
	v_add_f64_e32 v[92:93], v[102:103], v[135:136]
	v_add_f64_e32 v[88:89], v[106:107], v[76:77]
	v_add_nc_u32_e32 v116, 0x1f8, v120
	v_add_f64_e64 v[82:83], v[86:87], -v[26:27]
	v_add_f64_e32 v[86:87], v[26:27], v[86:87]
	v_add_f64_e64 v[84:85], v[137:138], -v[114:115]
	v_add_f64_e32 v[74:75], v[72:73], v[80:81]
	v_add_f64_e32 v[80:81], v[114:115], v[137:138]
	v_add_f64_e64 v[76:77], v[76:77], -v[106:107]
	v_add_f64_e64 v[72:73], v[135:136], -v[102:103]
	v_lshlrev_b64_e32 v[133:134], 4, v[116:117]
	v_add_nc_u32_e32 v116, 0x2a0, v120
	v_add_f64_e32 v[68:69], v[10:11], v[96:97]
	v_add_f64_e32 v[38:39], v[139:140], v[141:142]
	v_add_f64_e64 v[34:35], v[143:144], -v[30:31]
	v_add_f64_e32 v[30:31], v[30:31], v[143:144]
	v_add_f64_e64 v[26:27], v[141:142], -v[139:140]
	v_lshlrev_b64_e32 v[147:148], 4, v[116:117]
	v_add_nc_u32_e32 v116, 0x348, v120
	v_add_f64_e64 v[10:11], v[96:97], -v[10:11]
	v_add_co_u32 v0, vcc_lo, v125, v133
	s_wait_alu 0xfffd
	v_add_co_ci_u32_e32 v1, vcc_lo, v126, v134, vcc_lo
	v_lshlrev_b64_e32 v[96:97], 4, v[116:117]
	v_add_nc_u32_e32 v116, 0x3f0, v120
	v_add_co_u32 v98, vcc_lo, v125, v147
	s_wait_alu 0xfffd
	v_add_co_ci_u32_e32 v99, vcc_lo, v126, v148, vcc_lo
	s_delay_alu instid0(VALU_DEP_3) | instskip(SKIP_3) | instid1(VALU_DEP_3)
	v_lshlrev_b64_e32 v[102:103], 4, v[116:117]
	v_add_co_u32 v96, vcc_lo, v125, v96
	s_wait_alu 0xfffd
	v_add_co_ci_u32_e32 v97, vcc_lo, v126, v97, vcc_lo
	v_add_co_u32 v102, vcc_lo, v125, v102
	s_wait_alu 0xfffd
	v_add_co_ci_u32_e32 v103, vcc_lo, v126, v103, vcc_lo
	s_clause 0x14
	global_store_b128 v[6:7], v[22:25], off
	global_store_b128 v[6:7], v[64:67], off offset:2688
	global_store_b128 v[6:7], v[60:63], off offset:5376
	;; [unrolled: 1-line block ×6, first 2 shown]
	global_store_b128 v[123:124], v[2:5], off
	global_store_b128 v[58:59], v[92:95], off
	;; [unrolled: 1-line block ×14, first 2 shown]
.LBB0_37:
	s_nop 0
	s_sendmsg sendmsg(MSG_DEALLOC_VGPRS)
	s_endpgm
	.section	.rodata,"a",@progbits
	.p2align	6, 0x0
	.amdhsa_kernel fft_rtc_fwd_len1176_factors_2_2_2_3_7_7_wgs_56_tpt_56_halfLds_dp_op_CI_CI_unitstride_sbrr_dirReg
		.amdhsa_group_segment_fixed_size 0
		.amdhsa_private_segment_fixed_size 0
		.amdhsa_kernarg_size 104
		.amdhsa_user_sgpr_count 2
		.amdhsa_user_sgpr_dispatch_ptr 0
		.amdhsa_user_sgpr_queue_ptr 0
		.amdhsa_user_sgpr_kernarg_segment_ptr 1
		.amdhsa_user_sgpr_dispatch_id 0
		.amdhsa_user_sgpr_private_segment_size 0
		.amdhsa_wavefront_size32 1
		.amdhsa_uses_dynamic_stack 0
		.amdhsa_enable_private_segment 0
		.amdhsa_system_sgpr_workgroup_id_x 1
		.amdhsa_system_sgpr_workgroup_id_y 0
		.amdhsa_system_sgpr_workgroup_id_z 0
		.amdhsa_system_sgpr_workgroup_info 0
		.amdhsa_system_vgpr_workitem_id 0
		.amdhsa_next_free_vgpr 179
		.amdhsa_next_free_sgpr 39
		.amdhsa_reserve_vcc 1
		.amdhsa_float_round_mode_32 0
		.amdhsa_float_round_mode_16_64 0
		.amdhsa_float_denorm_mode_32 3
		.amdhsa_float_denorm_mode_16_64 3
		.amdhsa_fp16_overflow 0
		.amdhsa_workgroup_processor_mode 1
		.amdhsa_memory_ordered 1
		.amdhsa_forward_progress 0
		.amdhsa_round_robin_scheduling 0
		.amdhsa_exception_fp_ieee_invalid_op 0
		.amdhsa_exception_fp_denorm_src 0
		.amdhsa_exception_fp_ieee_div_zero 0
		.amdhsa_exception_fp_ieee_overflow 0
		.amdhsa_exception_fp_ieee_underflow 0
		.amdhsa_exception_fp_ieee_inexact 0
		.amdhsa_exception_int_div_zero 0
	.end_amdhsa_kernel
	.text
.Lfunc_end0:
	.size	fft_rtc_fwd_len1176_factors_2_2_2_3_7_7_wgs_56_tpt_56_halfLds_dp_op_CI_CI_unitstride_sbrr_dirReg, .Lfunc_end0-fft_rtc_fwd_len1176_factors_2_2_2_3_7_7_wgs_56_tpt_56_halfLds_dp_op_CI_CI_unitstride_sbrr_dirReg
                                        ; -- End function
	.section	.AMDGPU.csdata,"",@progbits
; Kernel info:
; codeLenInByte = 14204
; NumSgprs: 41
; NumVgprs: 179
; ScratchSize: 0
; MemoryBound: 1
; FloatMode: 240
; IeeeMode: 1
; LDSByteSize: 0 bytes/workgroup (compile time only)
; SGPRBlocks: 5
; VGPRBlocks: 22
; NumSGPRsForWavesPerEU: 41
; NumVGPRsForWavesPerEU: 179
; Occupancy: 8
; WaveLimiterHint : 1
; COMPUTE_PGM_RSRC2:SCRATCH_EN: 0
; COMPUTE_PGM_RSRC2:USER_SGPR: 2
; COMPUTE_PGM_RSRC2:TRAP_HANDLER: 0
; COMPUTE_PGM_RSRC2:TGID_X_EN: 1
; COMPUTE_PGM_RSRC2:TGID_Y_EN: 0
; COMPUTE_PGM_RSRC2:TGID_Z_EN: 0
; COMPUTE_PGM_RSRC2:TIDIG_COMP_CNT: 0
	.text
	.p2alignl 7, 3214868480
	.fill 96, 4, 3214868480
	.type	__hip_cuid_657f9944985a7036,@object ; @__hip_cuid_657f9944985a7036
	.section	.bss,"aw",@nobits
	.globl	__hip_cuid_657f9944985a7036
__hip_cuid_657f9944985a7036:
	.byte	0                               ; 0x0
	.size	__hip_cuid_657f9944985a7036, 1

	.ident	"AMD clang version 19.0.0git (https://github.com/RadeonOpenCompute/llvm-project roc-6.4.0 25133 c7fe45cf4b819c5991fe208aaa96edf142730f1d)"
	.section	".note.GNU-stack","",@progbits
	.addrsig
	.addrsig_sym __hip_cuid_657f9944985a7036
	.amdgpu_metadata
---
amdhsa.kernels:
  - .args:
      - .actual_access:  read_only
        .address_space:  global
        .offset:         0
        .size:           8
        .value_kind:     global_buffer
      - .offset:         8
        .size:           8
        .value_kind:     by_value
      - .actual_access:  read_only
        .address_space:  global
        .offset:         16
        .size:           8
        .value_kind:     global_buffer
      - .actual_access:  read_only
        .address_space:  global
        .offset:         24
        .size:           8
        .value_kind:     global_buffer
      - .actual_access:  read_only
        .address_space:  global
        .offset:         32
        .size:           8
        .value_kind:     global_buffer
      - .offset:         40
        .size:           8
        .value_kind:     by_value
      - .actual_access:  read_only
        .address_space:  global
        .offset:         48
        .size:           8
        .value_kind:     global_buffer
      - .actual_access:  read_only
        .address_space:  global
        .offset:         56
        .size:           8
        .value_kind:     global_buffer
      - .offset:         64
        .size:           4
        .value_kind:     by_value
      - .actual_access:  read_only
        .address_space:  global
        .offset:         72
        .size:           8
        .value_kind:     global_buffer
      - .actual_access:  read_only
        .address_space:  global
        .offset:         80
        .size:           8
        .value_kind:     global_buffer
      - .actual_access:  read_only
        .address_space:  global
        .offset:         88
        .size:           8
        .value_kind:     global_buffer
      - .actual_access:  write_only
        .address_space:  global
        .offset:         96
        .size:           8
        .value_kind:     global_buffer
    .group_segment_fixed_size: 0
    .kernarg_segment_align: 8
    .kernarg_segment_size: 104
    .language:       OpenCL C
    .language_version:
      - 2
      - 0
    .max_flat_workgroup_size: 56
    .name:           fft_rtc_fwd_len1176_factors_2_2_2_3_7_7_wgs_56_tpt_56_halfLds_dp_op_CI_CI_unitstride_sbrr_dirReg
    .private_segment_fixed_size: 0
    .sgpr_count:     41
    .sgpr_spill_count: 0
    .symbol:         fft_rtc_fwd_len1176_factors_2_2_2_3_7_7_wgs_56_tpt_56_halfLds_dp_op_CI_CI_unitstride_sbrr_dirReg.kd
    .uniform_work_group_size: 1
    .uses_dynamic_stack: false
    .vgpr_count:     179
    .vgpr_spill_count: 0
    .wavefront_size: 32
    .workgroup_processor_mode: 1
amdhsa.target:   amdgcn-amd-amdhsa--gfx1201
amdhsa.version:
  - 1
  - 2
...

	.end_amdgpu_metadata
